;; amdgpu-corpus repo=ROCm/rocFFT kind=compiled arch=gfx1030 opt=O3
	.text
	.amdgcn_target "amdgcn-amd-amdhsa--gfx1030"
	.amdhsa_code_object_version 6
	.protected	fft_rtc_back_len4050_factors_10_5_3_3_3_3_wgs_135_tpt_135_halfLds_dp_ip_CI_unitstride_sbrr_R2C_dirReg ; -- Begin function fft_rtc_back_len4050_factors_10_5_3_3_3_3_wgs_135_tpt_135_halfLds_dp_ip_CI_unitstride_sbrr_R2C_dirReg
	.globl	fft_rtc_back_len4050_factors_10_5_3_3_3_3_wgs_135_tpt_135_halfLds_dp_ip_CI_unitstride_sbrr_R2C_dirReg
	.p2align	8
	.type	fft_rtc_back_len4050_factors_10_5_3_3_3_3_wgs_135_tpt_135_halfLds_dp_ip_CI_unitstride_sbrr_R2C_dirReg,@function
fft_rtc_back_len4050_factors_10_5_3_3_3_3_wgs_135_tpt_135_halfLds_dp_ip_CI_unitstride_sbrr_R2C_dirReg: ; @fft_rtc_back_len4050_factors_10_5_3_3_3_3_wgs_135_tpt_135_halfLds_dp_ip_CI_unitstride_sbrr_R2C_dirReg
; %bb.0:
	s_clause 0x2
	s_load_dwordx4 s[8:11], s[4:5], 0x0
	s_load_dwordx2 s[2:3], s[4:5], 0x50
	s_load_dwordx2 s[12:13], s[4:5], 0x18
	v_mul_u32_u24_e32 v1, 0x1e6, v0
	v_mov_b32_e32 v3, 0
	v_add_nc_u32_sdwa v5, s6, v1 dst_sel:DWORD dst_unused:UNUSED_PAD src0_sel:DWORD src1_sel:WORD_1
	v_mov_b32_e32 v1, 0
	v_mov_b32_e32 v6, v3
	v_mov_b32_e32 v2, 0
	s_waitcnt lgkmcnt(0)
	v_cmp_lt_u64_e64 s0, s[10:11], 2
	s_and_b32 vcc_lo, exec_lo, s0
	s_cbranch_vccnz .LBB0_8
; %bb.1:
	s_load_dwordx2 s[0:1], s[4:5], 0x10
	v_mov_b32_e32 v1, 0
	s_add_u32 s6, s12, 8
	v_mov_b32_e32 v2, 0
	s_addc_u32 s7, s13, 0
	s_mov_b64 s[16:17], 1
	s_waitcnt lgkmcnt(0)
	s_add_u32 s14, s0, 8
	s_addc_u32 s15, s1, 0
.LBB0_2:                                ; =>This Inner Loop Header: Depth=1
	s_load_dwordx2 s[18:19], s[14:15], 0x0
                                        ; implicit-def: $vgpr7_vgpr8
	s_mov_b32 s0, exec_lo
	s_waitcnt lgkmcnt(0)
	v_or_b32_e32 v4, s19, v6
	v_cmpx_ne_u64_e32 0, v[3:4]
	s_xor_b32 s1, exec_lo, s0
	s_cbranch_execz .LBB0_4
; %bb.3:                                ;   in Loop: Header=BB0_2 Depth=1
	v_cvt_f32_u32_e32 v4, s18
	v_cvt_f32_u32_e32 v7, s19
	s_sub_u32 s0, 0, s18
	s_subb_u32 s20, 0, s19
	v_fmac_f32_e32 v4, 0x4f800000, v7
	v_rcp_f32_e32 v4, v4
	v_mul_f32_e32 v4, 0x5f7ffffc, v4
	v_mul_f32_e32 v7, 0x2f800000, v4
	v_trunc_f32_e32 v7, v7
	v_fmac_f32_e32 v4, 0xcf800000, v7
	v_cvt_u32_f32_e32 v7, v7
	v_cvt_u32_f32_e32 v4, v4
	v_mul_lo_u32 v8, s0, v7
	v_mul_hi_u32 v9, s0, v4
	v_mul_lo_u32 v10, s20, v4
	v_add_nc_u32_e32 v8, v9, v8
	v_mul_lo_u32 v9, s0, v4
	v_add_nc_u32_e32 v8, v8, v10
	v_mul_hi_u32 v10, v4, v9
	v_mul_lo_u32 v11, v4, v8
	v_mul_hi_u32 v12, v4, v8
	v_mul_hi_u32 v13, v7, v9
	v_mul_lo_u32 v9, v7, v9
	v_mul_hi_u32 v14, v7, v8
	v_mul_lo_u32 v8, v7, v8
	v_add_co_u32 v10, vcc_lo, v10, v11
	v_add_co_ci_u32_e32 v11, vcc_lo, 0, v12, vcc_lo
	v_add_co_u32 v9, vcc_lo, v10, v9
	v_add_co_ci_u32_e32 v9, vcc_lo, v11, v13, vcc_lo
	v_add_co_ci_u32_e32 v10, vcc_lo, 0, v14, vcc_lo
	v_add_co_u32 v8, vcc_lo, v9, v8
	v_add_co_ci_u32_e32 v9, vcc_lo, 0, v10, vcc_lo
	v_add_co_u32 v4, vcc_lo, v4, v8
	v_add_co_ci_u32_e32 v7, vcc_lo, v7, v9, vcc_lo
	v_mul_hi_u32 v8, s0, v4
	v_mul_lo_u32 v10, s20, v4
	v_mul_lo_u32 v9, s0, v7
	v_add_nc_u32_e32 v8, v8, v9
	v_mul_lo_u32 v9, s0, v4
	v_add_nc_u32_e32 v8, v8, v10
	v_mul_hi_u32 v10, v4, v9
	v_mul_lo_u32 v11, v4, v8
	v_mul_hi_u32 v12, v4, v8
	v_mul_hi_u32 v13, v7, v9
	v_mul_lo_u32 v9, v7, v9
	v_mul_hi_u32 v14, v7, v8
	v_mul_lo_u32 v8, v7, v8
	v_add_co_u32 v10, vcc_lo, v10, v11
	v_add_co_ci_u32_e32 v11, vcc_lo, 0, v12, vcc_lo
	v_add_co_u32 v9, vcc_lo, v10, v9
	v_add_co_ci_u32_e32 v9, vcc_lo, v11, v13, vcc_lo
	v_add_co_ci_u32_e32 v10, vcc_lo, 0, v14, vcc_lo
	v_add_co_u32 v8, vcc_lo, v9, v8
	v_add_co_ci_u32_e32 v9, vcc_lo, 0, v10, vcc_lo
	v_add_co_u32 v4, vcc_lo, v4, v8
	v_add_co_ci_u32_e32 v11, vcc_lo, v7, v9, vcc_lo
	v_mul_hi_u32 v13, v5, v4
	v_mad_u64_u32 v[9:10], null, v6, v4, 0
	v_mad_u64_u32 v[7:8], null, v5, v11, 0
	;; [unrolled: 1-line block ×3, first 2 shown]
	v_add_co_u32 v4, vcc_lo, v13, v7
	v_add_co_ci_u32_e32 v7, vcc_lo, 0, v8, vcc_lo
	v_add_co_u32 v4, vcc_lo, v4, v9
	v_add_co_ci_u32_e32 v4, vcc_lo, v7, v10, vcc_lo
	v_add_co_ci_u32_e32 v7, vcc_lo, 0, v12, vcc_lo
	v_add_co_u32 v4, vcc_lo, v4, v11
	v_add_co_ci_u32_e32 v9, vcc_lo, 0, v7, vcc_lo
	v_mul_lo_u32 v10, s19, v4
	v_mad_u64_u32 v[7:8], null, s18, v4, 0
	v_mul_lo_u32 v11, s18, v9
	v_sub_co_u32 v7, vcc_lo, v5, v7
	v_add3_u32 v8, v8, v11, v10
	v_sub_nc_u32_e32 v10, v6, v8
	v_subrev_co_ci_u32_e64 v10, s0, s19, v10, vcc_lo
	v_add_co_u32 v11, s0, v4, 2
	v_add_co_ci_u32_e64 v12, s0, 0, v9, s0
	v_sub_co_u32 v13, s0, v7, s18
	v_sub_co_ci_u32_e32 v8, vcc_lo, v6, v8, vcc_lo
	v_subrev_co_ci_u32_e64 v10, s0, 0, v10, s0
	v_cmp_le_u32_e32 vcc_lo, s18, v13
	v_cmp_eq_u32_e64 s0, s19, v8
	v_cndmask_b32_e64 v13, 0, -1, vcc_lo
	v_cmp_le_u32_e32 vcc_lo, s19, v10
	v_cndmask_b32_e64 v14, 0, -1, vcc_lo
	v_cmp_le_u32_e32 vcc_lo, s18, v7
	;; [unrolled: 2-line block ×3, first 2 shown]
	v_cndmask_b32_e64 v15, 0, -1, vcc_lo
	v_cmp_eq_u32_e32 vcc_lo, s19, v10
	v_cndmask_b32_e64 v7, v15, v7, s0
	v_cndmask_b32_e32 v10, v14, v13, vcc_lo
	v_add_co_u32 v13, vcc_lo, v4, 1
	v_add_co_ci_u32_e32 v14, vcc_lo, 0, v9, vcc_lo
	v_cmp_ne_u32_e32 vcc_lo, 0, v10
	v_cndmask_b32_e32 v8, v14, v12, vcc_lo
	v_cndmask_b32_e32 v10, v13, v11, vcc_lo
	v_cmp_ne_u32_e32 vcc_lo, 0, v7
	v_cndmask_b32_e32 v8, v9, v8, vcc_lo
	v_cndmask_b32_e32 v7, v4, v10, vcc_lo
.LBB0_4:                                ;   in Loop: Header=BB0_2 Depth=1
	s_andn2_saveexec_b32 s0, s1
	s_cbranch_execz .LBB0_6
; %bb.5:                                ;   in Loop: Header=BB0_2 Depth=1
	v_cvt_f32_u32_e32 v4, s18
	s_sub_i32 s1, 0, s18
	v_rcp_iflag_f32_e32 v4, v4
	v_mul_f32_e32 v4, 0x4f7ffffe, v4
	v_cvt_u32_f32_e32 v4, v4
	v_mul_lo_u32 v7, s1, v4
	v_mul_hi_u32 v7, v4, v7
	v_add_nc_u32_e32 v4, v4, v7
	v_mul_hi_u32 v4, v5, v4
	v_mul_lo_u32 v7, v4, s18
	v_add_nc_u32_e32 v8, 1, v4
	v_sub_nc_u32_e32 v7, v5, v7
	v_subrev_nc_u32_e32 v9, s18, v7
	v_cmp_le_u32_e32 vcc_lo, s18, v7
	v_cndmask_b32_e32 v7, v7, v9, vcc_lo
	v_cndmask_b32_e32 v4, v4, v8, vcc_lo
	v_cmp_le_u32_e32 vcc_lo, s18, v7
	v_add_nc_u32_e32 v8, 1, v4
	v_cndmask_b32_e32 v7, v4, v8, vcc_lo
	v_mov_b32_e32 v8, v3
.LBB0_6:                                ;   in Loop: Header=BB0_2 Depth=1
	s_or_b32 exec_lo, exec_lo, s0
	s_load_dwordx2 s[0:1], s[6:7], 0x0
	v_mul_lo_u32 v4, v8, s18
	v_mul_lo_u32 v11, v7, s19
	v_mad_u64_u32 v[9:10], null, v7, s18, 0
	s_add_u32 s16, s16, 1
	s_addc_u32 s17, s17, 0
	s_add_u32 s6, s6, 8
	s_addc_u32 s7, s7, 0
	;; [unrolled: 2-line block ×3, first 2 shown]
	v_add3_u32 v4, v10, v11, v4
	v_sub_co_u32 v5, vcc_lo, v5, v9
	v_sub_co_ci_u32_e32 v4, vcc_lo, v6, v4, vcc_lo
	s_waitcnt lgkmcnt(0)
	v_mul_lo_u32 v6, s1, v5
	v_mul_lo_u32 v4, s0, v4
	v_mad_u64_u32 v[1:2], null, s0, v5, v[1:2]
	v_cmp_ge_u64_e64 s0, s[16:17], s[10:11]
	s_and_b32 vcc_lo, exec_lo, s0
	v_add3_u32 v2, v6, v2, v4
	s_cbranch_vccnz .LBB0_9
; %bb.7:                                ;   in Loop: Header=BB0_2 Depth=1
	v_mov_b32_e32 v5, v7
	v_mov_b32_e32 v6, v8
	s_branch .LBB0_2
.LBB0_8:
	v_mov_b32_e32 v8, v6
	v_mov_b32_e32 v7, v5
.LBB0_9:
	s_lshl_b64 s[0:1], s[10:11], 3
	v_mul_hi_u32 v3, 0x1e573ad, v0
	s_add_u32 s0, s12, s0
	s_addc_u32 s1, s13, s1
	s_load_dwordx2 s[4:5], s[4:5], 0x20
	s_load_dwordx2 s[0:1], s[0:1], 0x0
	v_mul_u32_u24_e32 v3, 0x87, v3
	v_sub_nc_u32_e32 v100, v0, v3
	v_add_nc_u32_e32 v102, 0x87, v100
	v_add_nc_u32_e32 v113, 0x10e, v100
	;; [unrolled: 1-line block ×5, first 2 shown]
	s_waitcnt lgkmcnt(0)
	v_cmp_gt_u64_e32 vcc_lo, s[4:5], v[7:8]
	v_mul_lo_u32 v3, s0, v8
	v_mul_lo_u32 v4, s1, v7
	v_mad_u64_u32 v[0:1], null, s0, v7, v[1:2]
	v_cmp_le_u64_e64 s0, s[4:5], v[7:8]
	v_add_nc_u32_e32 v110, 0x2a3, v100
	v_add_nc_u32_e32 v108, 0x3b1, v100
	;; [unrolled: 1-line block ×4, first 2 shown]
	v_add3_u32 v1, v4, v1, v3
	s_and_saveexec_b32 s1, s0
	s_xor_b32 s0, exec_lo, s1
; %bb.10:
	v_add_nc_u32_e32 v102, 0x87, v100
	v_add_nc_u32_e32 v113, 0x10e, v100
	;; [unrolled: 1-line block ×9, first 2 shown]
; %bb.11:
	s_or_saveexec_b32 s1, s0
	v_lshlrev_b64 v[104:105], 4, v[0:1]
	s_xor_b32 exec_lo, exec_lo, s1
	s_cbranch_execz .LBB0_13
; %bb.12:
	v_mov_b32_e32 v101, 0
	v_add_co_u32 v2, s0, s2, v104
	v_add_co_ci_u32_e64 v3, s0, s3, v105, s0
	v_lshlrev_b64 v[0:1], 4, v[100:101]
	v_lshl_add_u32 v101, v100, 4, 0
	v_add_co_u32 v64, s0, v2, v0
	v_add_co_ci_u32_e64 v65, s0, v3, v1, s0
	v_add_co_u32 v4, s0, 0x800, v64
	v_add_co_ci_u32_e64 v5, s0, 0, v65, s0
	;; [unrolled: 2-line block ×30, first 2 shown]
	s_clause 0x1d
	global_load_dwordx4 v[0:3], v[64:65], off
	global_load_dwordx4 v[4:7], v[4:5], off offset:112
	global_load_dwordx4 v[8:11], v[8:9], off offset:224
	;; [unrolled: 1-line block ×29, first 2 shown]
	s_waitcnt vmcnt(29)
	ds_write_b128 v101, v[0:3]
	s_waitcnt vmcnt(28)
	ds_write_b128 v101, v[4:7] offset:2160
	s_waitcnt vmcnt(27)
	ds_write_b128 v101, v[8:11] offset:4320
	;; [unrolled: 2-line block ×29, first 2 shown]
.LBB0_13:
	s_or_b32 exec_lo, exec_lo, s1
	v_lshlrev_b32_e32 v101, 4, v100
	s_waitcnt lgkmcnt(0)
	s_barrier
	buffer_gl0_inv
	s_mov_b32 s10, 0x134454ff
	v_add_nc_u32_e32 v116, 0, v101
	s_mov_b32 s11, 0xbfee6f0e
	s_mov_b32 s13, 0x3fee6f0e
	;; [unrolled: 1-line block ×4, first 2 shown]
	ds_read_b128 v[44:47], v116 offset:45360
	ds_read_b128 v[48:51], v116 offset:32400
	;; [unrolled: 1-line block ×8, first 2 shown]
	ds_read_b128 v[80:83], v116
	ds_read_b128 v[32:35], v116 offset:2160
	ds_read_b128 v[84:87], v116 offset:12960
	;; [unrolled: 1-line block ×17, first 2 shown]
	s_mov_b32 s5, 0xbfe2cf23
	s_mov_b32 s7, 0x3fe2cf23
	;; [unrolled: 1-line block ×11, first 2 shown]
	v_mul_u32_u24_e32 v103, 10, v100
	s_waitcnt lgkmcnt(11)
	v_add_f64 v[137:138], v[76:77], v[56:57]
	v_add_f64 v[88:89], v[50:51], v[46:47]
	;; [unrolled: 1-line block ×4, first 2 shown]
	v_add_f64 v[125:126], v[54:55], -v[42:43]
	v_add_f64 v[127:128], v[52:53], -v[40:41]
	;; [unrolled: 1-line block ×3, first 2 shown]
	v_add_f64 v[131:132], v[52:53], v[40:41]
	v_add_f64 v[133:134], v[80:81], v[84:85]
	s_waitcnt lgkmcnt(8)
	v_add_f64 v[143:144], v[84:85], v[72:73]
	v_add_f64 v[145:146], v[78:79], v[58:59]
	;; [unrolled: 1-line block ×3, first 2 shown]
	v_add_f64 v[155:156], v[50:51], -v[46:47]
	v_add_f64 v[157:158], v[52:53], -v[48:49]
	;; [unrolled: 1-line block ×7, first 2 shown]
	v_add_f64 v[171:172], v[64:65], v[52:53]
	v_add_f64 v[54:55], v[66:67], v[54:55]
	v_add_f64 v[135:136], v[82:83], v[86:87]
	v_add_f64 v[139:140], v[78:79], -v[58:59]
	v_fma_f64 v[88:89], v[88:89], -0.5, v[66:67]
	v_fma_f64 v[98:99], v[98:99], -0.5, v[64:65]
	;; [unrolled: 1-line block ×3, first 2 shown]
	v_add_f64 v[141:142], v[84:85], -v[76:77]
	v_add_f64 v[149:150], v[76:77], -v[84:85]
	;; [unrolled: 1-line block ×3, first 2 shown]
	v_fma_f64 v[64:65], v[131:132], -0.5, v[64:65]
	v_add_f64 v[153:154], v[78:79], -v[86:87]
	v_add_f64 v[86:87], v[86:87], -v[74:75]
	;; [unrolled: 1-line block ×8, first 2 shown]
	v_fma_f64 v[137:138], v[137:138], -0.5, v[80:81]
	v_fma_f64 v[80:81], v[143:144], -0.5, v[80:81]
	;; [unrolled: 1-line block ×4, first 2 shown]
	v_add_f64 v[147:148], v[159:160], v[165:166]
	v_add_f64 v[157:158], v[157:158], v[163:164]
	;; [unrolled: 1-line block ×3, first 2 shown]
	v_fma_f64 v[167:168], v[127:128], s[12:13], v[88:89]
	v_fma_f64 v[66:67], v[125:126], s[10:11], v[98:99]
	;; [unrolled: 1-line block ×5, first 2 shown]
	v_add_f64 v[76:77], v[133:134], v[76:77]
	v_fma_f64 v[163:164], v[155:156], s[12:13], v[64:65]
	v_fma_f64 v[64:65], v[155:156], s[10:11], v[64:65]
	v_add_f64 v[145:146], v[56:57], -v[72:73]
	v_add_f64 v[165:166], v[58:59], -v[74:75]
	v_add_f64 v[78:79], v[135:136], v[78:79]
	v_add_f64 v[48:49], v[171:172], v[48:49]
	;; [unrolled: 1-line block ×5, first 2 shown]
	v_fma_f64 v[98:99], v[125:126], s[12:13], v[98:99]
	v_fma_f64 v[133:134], v[86:87], s[10:11], v[137:138]
	;; [unrolled: 1-line block ×4, first 2 shown]
	v_add_f64 v[169:170], v[34:35], v[30:31]
	v_add_f64 v[171:172], v[38:39], v[26:27]
	v_lshl_add_u32 v103, v103, 4, 0
	v_fma_f64 v[159:160], v[129:130], s[6:7], v[167:168]
	v_fma_f64 v[66:67], v[155:156], s[4:5], v[66:67]
	;; [unrolled: 1-line block ×4, first 2 shown]
	v_add_f64 v[127:128], v[151:152], v[175:176]
	v_fma_f64 v[88:89], v[129:130], s[4:5], v[88:89]
	v_fma_f64 v[129:130], v[84:85], s[12:13], v[143:144]
	;; [unrolled: 1-line block ×4, first 2 shown]
	v_add_f64 v[56:57], v[76:77], v[56:57]
	v_fma_f64 v[64:65], v[125:126], s[6:7], v[64:65]
	v_add_f64 v[145:146], v[149:150], v[145:146]
	v_add_f64 v[58:59], v[78:79], v[58:59]
	;; [unrolled: 1-line block ×4, first 2 shown]
	v_fma_f64 v[48:49], v[155:156], s[6:7], v[98:99]
	v_fma_f64 v[50:51], v[139:140], s[4:5], v[133:134]
	v_add_f64 v[167:168], v[32:33], v[28:29]
	v_fma_f64 v[80:81], v[86:87], s[6:7], v[80:81]
	s_waitcnt lgkmcnt(0)
	v_add_f64 v[175:176], v[119:120], -v[123:124]
	v_add_f64 v[177:178], v[30:31], -v[22:23]
	v_fma_f64 v[135:136], v[147:148], s[0:1], v[159:160]
	v_fma_f64 v[66:67], v[157:158], s[0:1], v[66:67]
	;; [unrolled: 1-line block ×5, first 2 shown]
	v_add_f64 v[114:115], v[153:154], v[165:166]
	v_fma_f64 v[125:126], v[86:87], s[12:13], v[137:138]
	v_fma_f64 v[137:138], v[84:85], s[10:11], v[143:144]
	;; [unrolled: 1-line block ×7, first 2 shown]
	v_add_f64 v[56:57], v[56:57], v[72:73]
	v_add_f64 v[58:59], v[58:59], v[74:75]
	;; [unrolled: 1-line block ×3, first 2 shown]
	v_fma_f64 v[48:49], v[157:158], s[0:1], v[48:49]
	v_add_f64 v[143:144], v[94:95], v[117:118]
	v_add_f64 v[147:148], v[96:97], v[119:120]
	v_add_f64 v[157:158], v[121:122], -v[117:118]
	v_add_f64 v[163:164], v[123:124], -v[119:120]
	v_mul_f64 v[98:99], v[135:136], s[4:5]
	v_mul_f64 v[86:87], v[66:67], s[6:7]
	v_fma_f64 v[84:85], v[52:53], s[0:1], v[159:160]
	v_mul_f64 v[141:142], v[131:132], s[10:11]
	v_mul_f64 v[131:132], v[131:132], s[0:1]
	v_fma_f64 v[52:53], v[52:53], s[0:1], v[64:65]
	;; [unrolled: 3-line block ×3, first 2 shown]
	v_fma_f64 v[125:126], v[179:180], s[4:5], v[137:138]
	v_add_f64 v[137:138], v[46:47], v[42:43]
	v_fma_f64 v[139:140], v[54:55], s[0:1], v[50:51]
	v_mul_f64 v[50:51], v[78:79], s[4:5]
	v_mul_f64 v[78:79], v[78:79], s[18:19]
	v_fma_f64 v[88:89], v[127:128], s[0:1], v[88:89]
	v_fma_f64 v[129:130], v[145:146], s[0:1], v[129:130]
	v_fma_f64 v[133:134], v[114:115], s[0:1], v[133:134]
	v_fma_f64 v[114:115], v[114:115], s[0:1], v[82:83]
	ds_read_b128 v[40:43], v116 offset:21600
	v_add_f64 v[44:45], v[56:57], v[74:75]
	v_add_f64 v[159:160], v[96:97], -v[119:120]
	v_fma_f64 v[98:99], v[66:67], s[14:15], v[98:99]
	v_fma_f64 v[86:87], v[135:136], s[14:15], v[86:87]
	;; [unrolled: 1-line block ×9, first 2 shown]
	v_add_f64 v[46:47], v[58:59], v[137:138]
	v_add_f64 v[52:53], v[56:57], -v[74:75]
	v_add_f64 v[54:55], v[58:59], -v[137:138]
	v_fma_f64 v[137:138], v[48:49], s[18:19], v[50:51]
	v_fma_f64 v[153:154], v[48:49], s[6:7], v[78:79]
	ds_read_b128 v[64:67], v116 offset:23760
	ds_read_b128 v[48:51], v116 offset:62640
	s_waitcnt lgkmcnt(2)
	v_add_f64 v[155:156], v[42:43], v[123:124]
	v_add_f64 v[161:162], v[42:43], -v[96:97]
	v_add_f64 v[173:174], v[96:97], -v[42:43]
	v_add_f64 v[56:57], v[139:140], v[98:99]
	v_add_f64 v[58:59], v[88:89], v[86:87]
	v_add_f64 v[72:73], v[139:140], -v[98:99]
	v_add_f64 v[74:75], v[88:89], -v[86:87]
	v_add_f64 v[78:79], v[133:134], v[84:85]
	v_add_f64 v[82:83], v[133:134], -v[84:85]
	v_add_f64 v[84:85], v[131:132], v[141:142]
	v_add_f64 v[86:87], v[114:115], v[145:146]
	v_add_f64 v[125:126], v[131:132], -v[141:142]
	v_add_f64 v[127:128], v[114:115], -v[145:146]
	;; [unrolled: 1-line block ×4, first 2 shown]
	v_fma_f64 v[114:115], v[147:148], -0.5, v[92:93]
	v_fma_f64 v[141:142], v[143:144], -0.5, v[90:91]
	v_add_f64 v[76:77], v[129:130], v[135:136]
	v_add_f64 v[80:81], v[129:130], -v[135:136]
	v_add_f64 v[133:134], v[149:150], v[137:138]
	v_add_f64 v[135:136], v[151:152], v[153:154]
	v_add_f64 v[143:144], v[94:95], -v[117:118]
	v_add_f64 v[145:146], v[40:41], v[121:122]
	v_fma_f64 v[147:148], v[155:156], -0.5, v[92:93]
	v_add_f64 v[137:138], v[149:150], -v[137:138]
	v_add_f64 v[139:140], v[151:152], -v[153:154]
	v_add_f64 v[149:150], v[167:168], v[36:37]
	v_add_f64 v[151:152], v[169:170], v[38:39]
	;; [unrolled: 1-line block ×3, first 2 shown]
	v_add_f64 v[155:156], v[40:41], -v[94:95]
	v_add_f64 v[169:170], v[36:37], v[24:25]
	ds_read_b128 v[129:132], v116 offset:10800
	s_waitcnt lgkmcnt(0)
	s_barrier
	buffer_gl0_inv
	v_add_f64 v[42:43], v[92:93], v[42:43]
	ds_write_b128 v103, v[44:47]
	v_fma_f64 v[165:166], v[98:99], s[12:13], v[114:115]
	v_fma_f64 v[167:168], v[88:89], s[10:11], v[141:142]
	v_add_f64 v[46:47], v[28:29], v[20:21]
	v_add_f64 v[92:93], v[30:31], v[22:23]
	v_add_f64 v[40:41], v[94:95], -v[40:41]
	ds_write_b128 v103, v[56:59] offset:16
	ds_write_b128 v103, v[76:79] offset:32
	;; [unrolled: 1-line block ×5, first 2 shown]
	v_fma_f64 v[90:91], v[145:146], -0.5, v[90:91]
	v_fma_f64 v[145:146], v[143:144], s[10:11], v[147:148]
	v_fma_f64 v[147:148], v[143:144], s[12:13], v[147:148]
	ds_write_b128 v103, v[72:75] offset:96
	ds_write_b128 v103, v[80:83] offset:112
	;; [unrolled: 1-line block ×4, first 2 shown]
	v_add_f64 v[44:45], v[149:150], v[24:25]
	v_add_f64 v[149:150], v[151:152], v[26:27]
	;; [unrolled: 1-line block ×4, first 2 shown]
	v_add_f64 v[155:156], v[28:29], -v[20:21]
	v_add_f64 v[157:158], v[161:162], v[163:164]
	v_add_f64 v[151:152], v[38:39], -v[26:27]
	v_add_f64 v[125:126], v[64:65], -v[68:69]
	;; [unrolled: 1-line block ×3, first 2 shown]
	v_add_f64 v[42:43], v[42:43], v[96:97]
	v_add_f64 v[96:97], v[28:29], -v[36:37]
	v_fma_f64 v[161:162], v[143:144], s[6:7], v[165:166]
	v_fma_f64 v[163:164], v[159:160], s[4:5], v[167:168]
	v_add_f64 v[165:166], v[117:118], -v[121:122]
	v_fma_f64 v[167:168], v[169:170], -0.5, v[32:33]
	v_fma_f64 v[169:170], v[171:172], -0.5, v[34:35]
	v_add_f64 v[171:172], v[173:174], v[175:176]
	v_add_f64 v[175:176], v[36:37], -v[24:25]
	v_fma_f64 v[173:174], v[159:160], s[12:13], v[90:91]
	v_fma_f64 v[145:146], v[98:99], s[6:7], v[145:146]
	v_fma_f64 v[32:33], v[46:47], -0.5, v[32:33]
	v_fma_f64 v[34:35], v[92:93], -0.5, v[34:35]
	v_add_f64 v[28:29], v[36:37], -v[28:29]
	v_add_f64 v[36:37], v[30:31], -v[38:39]
	;; [unrolled: 1-line block ×4, first 2 shown]
	v_fma_f64 v[46:47], v[159:160], s[10:11], v[90:91]
	v_fma_f64 v[90:91], v[98:99], s[4:5], v[147:148]
	v_add_f64 v[92:93], v[22:23], -v[26:27]
	v_add_f64 v[24:25], v[24:25], -v[20:21]
	;; [unrolled: 1-line block ×3, first 2 shown]
	v_add_f64 v[94:95], v[94:95], v[117:118]
	v_add_f64 v[42:43], v[42:43], v[119:120]
	v_fma_f64 v[147:148], v[157:158], s[0:1], v[161:162]
	v_fma_f64 v[161:162], v[153:154], s[0:1], v[163:164]
	v_add_f64 v[40:41], v[40:41], v[165:166]
	v_fma_f64 v[163:164], v[177:178], s[10:11], v[167:168]
	v_fma_f64 v[165:166], v[155:156], s[12:13], v[169:170]
	v_add_f64 v[20:21], v[44:45], v[20:21]
	v_add_f64 v[22:23], v[149:150], v[22:23]
	v_fma_f64 v[173:174], v[88:89], s[4:5], v[173:174]
	v_fma_f64 v[145:146], v[171:172], s[0:1], v[145:146]
	;; [unrolled: 1-line block ×7, first 2 shown]
	v_add_f64 v[96:97], v[96:97], v[38:39]
	v_fma_f64 v[46:47], v[88:89], s[6:7], v[46:47]
	v_fma_f64 v[90:91], v[171:172], s[0:1], v[90:91]
	v_add_f64 v[92:93], v[36:37], v[92:93]
	v_add_f64 v[24:25], v[28:29], v[24:25]
	v_add_f64 v[26:27], v[30:31], v[26:27]
	v_add_f64 v[56:57], v[94:95], v[121:122]
	v_add_f64 v[42:43], v[42:43], v[123:124]
	v_mul_f64 v[36:37], v[147:148], s[4:5]
	v_mul_f64 v[38:39], v[161:162], s[6:7]
	v_add_f64 v[94:95], v[70:71], v[62:63]
	v_fma_f64 v[163:164], v[151:152], s[4:5], v[163:164]
	v_fma_f64 v[165:166], v[175:176], s[6:7], v[165:166]
	v_add_f64 v[121:122], v[66:67], v[50:51]
	v_add_f64 v[114:115], v[64:65], v[48:49]
	v_fma_f64 v[171:172], v[40:41], s[0:1], v[173:174]
	v_mul_f64 v[173:174], v[145:146], s[10:11]
	v_mul_f64 v[145:146], v[145:146], s[0:1]
	v_fma_f64 v[28:29], v[177:178], s[4:5], v[117:118]
	v_fma_f64 v[30:31], v[155:156], s[6:7], v[119:120]
	;; [unrolled: 1-line block ×4, first 2 shown]
	v_add_f64 v[117:118], v[68:69], v[60:61]
	v_fma_f64 v[40:41], v[40:41], s[0:1], v[46:47]
	v_mul_f64 v[44:45], v[90:91], s[10:11]
	v_mul_f64 v[46:47], v[90:91], s[16:17]
	v_fma_f64 v[98:99], v[143:144], s[4:5], v[98:99]
	v_add_f64 v[119:120], v[14:15], v[2:3]
	v_add_f64 v[52:53], v[20:21], v[56:57]
	v_add_f64 v[20:21], v[20:21], -v[56:57]
	v_fma_f64 v[36:37], v[161:162], s[14:15], v[36:37]
	v_fma_f64 v[38:39], v[147:148], s[14:15], v[38:39]
	v_add_f64 v[56:57], v[4:5], v[8:9]
	v_fma_f64 v[58:59], v[96:97], s[0:1], v[163:164]
	v_fma_f64 v[90:91], v[92:93], s[0:1], v[165:166]
	v_add_f64 v[54:55], v[22:23], v[42:43]
	v_add_f64 v[22:23], v[22:23], -v[42:43]
	v_fma_f64 v[114:115], v[114:115], -0.5, v[129:130]
	v_fma_f64 v[76:77], v[171:172], s[0:1], v[173:174]
	v_fma_f64 v[78:79], v[171:172], s[12:13], v[145:146]
	;; [unrolled: 1-line block ×6, first 2 shown]
	v_add_f64 v[123:124], v[70:71], -v[62:63]
	v_add_f64 v[133:134], v[50:51], -v[62:63]
	v_fma_f64 v[80:81], v[40:41], s[16:17], v[44:45]
	v_fma_f64 v[82:83], v[40:41], s[12:13], v[46:47]
	;; [unrolled: 1-line block ×4, first 2 shown]
	v_and_b32_e32 v103, 0xff, v100
	v_fma_f64 v[56:57], v[56:57], -0.5, v[16:17]
	v_add_f64 v[24:25], v[58:59], v[36:37]
	v_add_f64 v[26:27], v[90:91], v[38:39]
	v_add_f64 v[28:29], v[58:59], -v[36:37]
	v_add_f64 v[30:31], v[90:91], -v[38:39]
	v_add_f64 v[58:59], v[12:13], v[0:1]
	v_add_f64 v[90:91], v[6:7], v[10:11]
	;; [unrolled: 1-line block ×4, first 2 shown]
	v_add_f64 v[36:37], v[84:85], -v[76:77]
	v_add_f64 v[38:39], v[86:87], -v[78:79]
	v_add_f64 v[76:77], v[129:130], v[64:65]
	v_add_f64 v[78:79], v[131:132], v[66:67]
	;; [unrolled: 1-line block ×4, first 2 shown]
	v_add_f64 v[40:41], v[72:73], -v[80:81]
	v_add_f64 v[42:43], v[74:75], -v[82:83]
	v_add_f64 v[72:73], v[16:17], v[12:13]
	v_fma_f64 v[74:75], v[94:95], -0.5, v[131:132]
	v_fma_f64 v[80:81], v[117:118], -0.5, v[129:130]
	v_add_f64 v[82:83], v[64:65], -v[48:49]
	v_add_f64 v[84:85], v[66:67], -v[50:51]
	v_fma_f64 v[86:87], v[88:89], s[12:13], v[141:142]
	v_add_f64 v[94:95], v[68:69], -v[60:61]
	v_fma_f64 v[129:130], v[177:178], s[12:13], v[167:168]
	v_add_f64 v[66:67], v[70:71], -v[66:67]
	v_fma_f64 v[16:17], v[58:59], -0.5, v[16:17]
	v_fma_f64 v[58:59], v[90:91], -0.5, v[18:19]
	;; [unrolled: 1-line block ×3, first 2 shown]
	v_add_f64 v[131:132], v[48:49], -v[60:61]
	v_add_f64 v[64:65], v[68:69], -v[64:65]
	v_fma_f64 v[88:89], v[119:120], -0.5, v[18:19]
	v_add_f64 v[18:19], v[18:19], v[14:15]
	v_add_f64 v[76:77], v[76:77], v[68:69]
	;; [unrolled: 1-line block ×3, first 2 shown]
	v_add_f64 v[117:118], v[12:13], -v[4:5]
	v_add_f64 v[119:120], v[4:5], -v[12:13]
	;; [unrolled: 1-line block ×5, first 2 shown]
	v_add_f64 v[72:73], v[72:73], v[4:5]
	v_add_f64 v[12:13], v[12:13], -v[0:1]
	v_fma_f64 v[135:136], v[82:83], s[12:13], v[74:75]
	v_fma_f64 v[137:138], v[84:85], s[10:11], v[80:81]
	;; [unrolled: 1-line block ×3, first 2 shown]
	v_add_f64 v[86:87], v[62:63], -v[50:51]
	v_fma_f64 v[74:75], v[82:83], s[10:11], v[74:75]
	v_fma_f64 v[80:81], v[84:85], s[12:13], v[80:81]
	v_add_f64 v[4:5], v[4:5], -v[8:9]
	v_fma_f64 v[143:144], v[94:95], s[10:11], v[90:91]
	v_fma_f64 v[68:69], v[94:95], s[12:13], v[90:91]
	v_add_f64 v[90:91], v[125:126], v[131:132]
	v_add_f64 v[125:126], v[127:128], v[133:134]
	v_fma_f64 v[131:132], v[175:176], s[4:5], v[139:140]
	v_add_f64 v[76:77], v[76:77], v[60:61]
	v_add_f64 v[62:63], v[78:79], v[62:63]
	v_add_f64 v[60:61], v[60:61], -v[48:49]
	v_fma_f64 v[78:79], v[151:152], s[6:7], v[129:130]
	v_add_f64 v[18:19], v[18:19], v[6:7]
	v_add_f64 v[6:7], v[6:7], -v[10:11]
	v_add_f64 v[72:73], v[72:73], v[8:9]
	v_fma_f64 v[127:128], v[94:95], s[6:7], v[135:136]
	v_fma_f64 v[129:130], v[123:124], s[4:5], v[137:138]
	;; [unrolled: 1-line block ×3, first 2 shown]
	v_add_f64 v[66:67], v[66:67], v[86:87]
	v_fma_f64 v[86:87], v[123:124], s[12:13], v[114:115]
	v_mul_f64 v[135:136], v[98:99], s[4:5]
	v_fma_f64 v[74:75], v[94:95], s[4:5], v[74:75]
	v_fma_f64 v[114:115], v[123:124], s[10:11], v[114:115]
	;; [unrolled: 1-line block ×4, first 2 shown]
	v_mul_f64 v[82:83], v[98:99], s[18:19]
	v_add_f64 v[137:138], v[0:1], -v[8:9]
	v_add_f64 v[8:9], v[8:9], -v[0:1]
	;; [unrolled: 1-line block ×3, first 2 shown]
	v_fma_f64 v[92:93], v[92:93], s[0:1], v[131:132]
	v_add_f64 v[60:61], v[64:65], v[60:61]
	v_fma_f64 v[78:79], v[96:97], s[0:1], v[78:79]
	v_add_f64 v[18:19], v[18:19], v[10:11]
	v_add_f64 v[10:11], v[10:11], -v[2:3]
	v_add_f64 v[48:49], v[76:77], v[48:49]
	v_add_f64 v[72:73], v[72:73], v[0:1]
	v_add_f64 v[50:51], v[62:63], v[50:51]
	v_fma_f64 v[96:97], v[125:126], s[0:1], v[127:128]
	v_fma_f64 v[98:99], v[90:91], s[0:1], v[129:130]
	;; [unrolled: 1-line block ×18, first 2 shown]
	v_add_f64 v[80:81], v[117:118], v[137:138]
	v_add_f64 v[82:83], v[121:122], v[94:95]
	;; [unrolled: 1-line block ×4, first 2 shown]
	v_mul_f64 v[94:95], v[96:97], s[4:5]
	v_mul_f64 v[114:115], v[98:99], s[6:7]
	v_fma_f64 v[117:118], v[6:7], s[4:5], v[127:128]
	v_fma_f64 v[121:122], v[4:5], s[6:7], v[129:130]
	;; [unrolled: 1-line block ×3, first 2 shown]
	v_add_f64 v[18:19], v[18:19], v[2:3]
	v_fma_f64 v[6:7], v[6:7], s[6:7], v[56:57]
	v_fma_f64 v[4:5], v[4:5], s[4:5], v[58:59]
	v_mul_f64 v[119:120], v[86:87], s[10:11]
	v_mul_f64 v[86:87], v[86:87], s[0:1]
	v_add_f64 v[0:1], v[78:79], v[131:132]
	v_fma_f64 v[56:57], v[90:91], s[0:1], v[70:71]
	v_mul_f64 v[58:59], v[74:75], s[4:5]
	v_mul_f64 v[70:71], v[74:75], s[18:19]
	v_fma_f64 v[123:124], v[14:15], s[4:5], v[133:134]
	v_fma_f64 v[125:126], v[12:13], s[6:7], v[135:136]
	v_fma_f64 v[14:15], v[14:15], s[6:7], v[16:17]
	v_fma_f64 v[12:13], v[12:13], s[4:5], v[88:89]
	v_fma_f64 v[16:17], v[60:61], s[0:1], v[84:85]
	v_mul_f64 v[60:61], v[66:67], s[10:11]
	v_mul_f64 v[66:67], v[66:67], s[16:17]
	v_add_f64 v[2:3], v[92:93], v[68:69]
	v_fma_f64 v[62:63], v[98:99], s[14:15], v[94:95]
	v_fma_f64 v[74:75], v[96:97], s[14:15], v[114:115]
	;; [unrolled: 1-line block ×8, first 2 shown]
	v_add_f64 v[4:5], v[78:79], -v[131:132]
	v_add_f64 v[6:7], v[92:93], -v[68:69]
	v_fma_f64 v[118:119], v[56:57], s[18:19], v[58:59]
	v_fma_f64 v[120:121], v[56:57], s[6:7], v[70:71]
	v_fma_f64 v[86:87], v[8:9], s[0:1], v[123:124]
	v_fma_f64 v[90:91], v[10:11], s[0:1], v[125:126]
	v_fma_f64 v[94:95], v[8:9], s[0:1], v[14:15]
	v_fma_f64 v[96:97], v[10:11], s[0:1], v[12:13]
	v_add_f64 v[8:9], v[72:73], v[48:49]
	v_fma_f64 v[98:99], v[16:17], s[16:17], v[60:61]
	v_fma_f64 v[114:115], v[16:17], s[12:13], v[66:67]
	v_add_f64 v[12:13], v[72:73], -v[48:49]
	v_mul_i32_i24_e32 v72, 10, v102
	v_add_f64 v[10:11], v[18:19], v[50:51]
	v_add_f64 v[14:15], v[18:19], -v[50:51]
	v_add_f64 v[16:17], v[76:77], v[62:63]
	v_add_f64 v[18:19], v[84:85], v[74:75]
	v_lshl_add_u32 v117, v72, 4, 0
	v_add_f64 v[48:49], v[76:77], -v[62:63]
	v_add_f64 v[50:51], v[84:85], -v[74:75]
	v_mov_b32_e32 v84, 6
	v_mov_b32_e32 v85, 0xcccd
	ds_write_b128 v117, v[52:55]
	ds_write_b128 v117, v[24:27] offset:16
	ds_write_b128 v117, v[32:35] offset:32
	;; [unrolled: 1-line block ×3, first 2 shown]
	v_mul_lo_u16 v25, 0xcd, v103
	v_add_f64 v[76:77], v[80:81], -v[118:119]
	v_add_f64 v[78:79], v[82:83], -v[120:121]
	v_add_f64 v[56:57], v[86:87], v[88:89]
	v_add_f64 v[58:59], v[90:91], v[64:65]
	v_add_f64 v[60:61], v[86:87], -v[88:89]
	v_add_f64 v[62:63], v[90:91], -v[64:65]
	v_add_f64 v[64:65], v[94:95], v[98:99]
	v_add_f64 v[66:67], v[96:97], v[114:115]
	v_lshrrev_b16 v131, 11, v25
	v_add_f64 v[68:69], v[94:95], -v[98:99]
	v_add_f64 v[70:71], v[96:97], -v[114:115]
	v_add_f64 v[72:73], v[80:81], v[118:119]
	v_add_f64 v[74:75], v[82:83], v[120:121]
	ds_write_b128 v117, v[0:3] offset:64
	ds_write_b128 v117, v[20:23] offset:80
	;; [unrolled: 1-line block ×3, first 2 shown]
	v_mul_lo_u16 v0, v131, 10
	v_mul_i32_i24_e32 v24, 10, v113
	v_mul_u32_u24_sdwa v1, v102, v85 dst_sel:DWORD dst_unused:UNUSED_PAD src0_sel:WORD_0 src1_sel:DWORD
	v_mul_u32_u24_sdwa v21, v113, v85 dst_sel:DWORD dst_unused:UNUSED_PAD src0_sel:WORD_0 src1_sel:DWORD
	v_lshl_add_u32 v119, v109, 4, 0
	v_sub_nc_u16 v132, v100, v0
	v_lshl_add_u32 v118, v24, 4, 0
	ds_write_b128 v117, v[36:39] offset:112
	ds_write_b128 v117, v[40:43] offset:128
	ds_write_b128 v117, v[4:7] offset:144
	ds_write_b128 v118, v[8:11]
	ds_write_b128 v118, v[16:19] offset:16
	ds_write_b128 v118, v[56:59] offset:32
	ds_write_b128 v118, v[64:67] offset:48
	ds_write_b128 v118, v[72:75] offset:64
	v_lshlrev_b32_sdwa v0, v84, v132 dst_sel:DWORD dst_unused:UNUSED_PAD src0_sel:DWORD src1_sel:BYTE_0
	ds_write_b128 v118, v[12:15] offset:80
	ds_write_b128 v118, v[48:51] offset:96
	;; [unrolled: 1-line block ×5, first 2 shown]
	s_waitcnt lgkmcnt(0)
	s_barrier
	buffer_gl0_inv
	s_clause 0x1
	global_load_dwordx4 v[12:15], v0, s[8:9]
	global_load_dwordx4 v[8:11], v0, s[8:9] offset:16
	v_lshrrev_b32_e32 v129, 19, v1
	global_load_dwordx4 v[4:7], v0, s[8:9] offset:32
	v_lshrrev_b32_e32 v128, 19, v21
	v_mul_u32_u24_sdwa v37, v112, v85 dst_sel:DWORD dst_unused:UNUSED_PAD src0_sel:WORD_0 src1_sel:DWORD
	v_mul_u32_u24_sdwa v57, v111, v85 dst_sel:DWORD dst_unused:UNUSED_PAD src0_sel:WORD_0 src1_sel:DWORD
	v_mul_lo_u16 v1, v129, 10
	v_lshl_add_u32 v120, v112, 4, 0
	v_mul_lo_u16 v21, v128, 10
	v_lshrrev_b32_e32 v126, 19, v37
	v_lshrrev_b32_e32 v123, 19, v57
	v_sub_nc_u16 v130, v102, v1
	v_sub_nc_u16 v127, v113, v21
	v_mul_lo_u16 v48, v126, 10
	v_mul_lo_u16 v64, v123, 10
	v_lshlrev_b32_sdwa v20, v84, v130 dst_sel:DWORD dst_unused:UNUSED_PAD src0_sel:DWORD src1_sel:WORD_0
	v_lshlrev_b32_sdwa v36, v84, v127 dst_sel:DWORD dst_unused:UNUSED_PAD src0_sel:DWORD src1_sel:WORD_0
	v_sub_nc_u16 v125, v112, v48
	v_sub_nc_u16 v124, v111, v64
	s_clause 0x8
	global_load_dwordx4 v[16:19], v20, s[8:9]
	global_load_dwordx4 v[0:3], v0, s[8:9] offset:48
	global_load_dwordx4 v[28:31], v20, s[8:9] offset:16
	;; [unrolled: 1-line block ×3, first 2 shown]
	global_load_dwordx4 v[32:35], v36, s[8:9]
	global_load_dwordx4 v[20:23], v20, s[8:9] offset:48
	global_load_dwordx4 v[44:47], v36, s[8:9] offset:16
	global_load_dwordx4 v[40:43], v36, s[8:9] offset:32
	global_load_dwordx4 v[36:39], v36, s[8:9] offset:48
	v_lshlrev_b32_sdwa v56, v84, v125 dst_sel:DWORD dst_unused:UNUSED_PAD src0_sel:DWORD src1_sel:WORD_0
	s_clause 0x3
	global_load_dwordx4 v[48:51], v56, s[8:9]
	global_load_dwordx4 v[52:55], v56, s[8:9] offset:16
	global_load_dwordx4 v[60:63], v56, s[8:9] offset:32
	global_load_dwordx4 v[56:59], v56, s[8:9] offset:48
	v_lshlrev_b32_sdwa v76, v84, v124 dst_sel:DWORD dst_unused:UNUSED_PAD src0_sel:DWORD src1_sel:WORD_0
	s_clause 0x3
	global_load_dwordx4 v[64:67], v76, s[8:9]
	global_load_dwordx4 v[68:71], v76, s[8:9] offset:16
	global_load_dwordx4 v[72:75], v76, s[8:9] offset:32
	;; [unrolled: 1-line block ×3, first 2 shown]
	v_mul_u32_u24_sdwa v76, v110, v85 dst_sel:DWORD dst_unused:UNUSED_PAD src0_sel:WORD_0 src1_sel:DWORD
	v_lshrrev_b32_e32 v121, 19, v76
	v_mul_lo_u16 v76, v121, 10
	v_sub_nc_u16 v122, v110, v76
	v_lshlrev_b32_sdwa v92, v84, v122 dst_sel:DWORD dst_unused:UNUSED_PAD src0_sel:DWORD src1_sel:WORD_0
	s_clause 0x3
	global_load_dwordx4 v[76:79], v92, s[8:9]
	global_load_dwordx4 v[88:91], v92, s[8:9] offset:16
	global_load_dwordx4 v[84:87], v92, s[8:9] offset:32
	;; [unrolled: 1-line block ×3, first 2 shown]
	ds_read_b128 v[133:136], v119
	ds_read_b128 v[137:140], v116 offset:25920
	ds_read_b128 v[141:144], v116 offset:38880
	;; [unrolled: 1-line block ×3, first 2 shown]
	ds_read_b128 v[96:99], v120
	ds_read_b128 v[149:152], v116 offset:15120
	ds_read_b128 v[153:156], v116 offset:28080
	;; [unrolled: 1-line block ×4, first 2 shown]
	s_waitcnt vmcnt(23) lgkmcnt(8)
	v_mul_f64 v[114:115], v[135:136], v[14:15]
	v_mul_f64 v[14:15], v[133:134], v[14:15]
	s_waitcnt vmcnt(22) lgkmcnt(7)
	v_mul_f64 v[165:166], v[139:140], v[10:11]
	v_mul_f64 v[10:11], v[137:138], v[10:11]
	s_waitcnt vmcnt(21) lgkmcnt(6)
	v_mul_f64 v[167:168], v[143:144], v[6:7]
	v_mul_f64 v[169:170], v[141:142], v[6:7]
	v_fma_f64 v[173:174], v[133:134], v[12:13], v[114:115]
	v_fma_f64 v[175:176], v[135:136], v[12:13], -v[14:15]
	ds_read_b128 v[133:136], v116
	s_waitcnt vmcnt(20) lgkmcnt(4)
	v_mul_f64 v[12:13], v[151:152], v[18:19]
	s_waitcnt vmcnt(19)
	v_mul_f64 v[171:172], v[147:148], v[2:3]
	v_mul_f64 v[2:3], v[145:146], v[2:3]
	;; [unrolled: 1-line block ×3, first 2 shown]
	v_fma_f64 v[137:138], v[137:138], v[8:9], v[165:166]
	v_fma_f64 v[139:140], v[139:140], v[8:9], -v[10:11]
	ds_read_b128 v[6:9], v116 offset:17280
	s_waitcnt vmcnt(18) lgkmcnt(4)
	v_mul_f64 v[18:19], v[155:156], v[30:31]
	v_mul_f64 v[30:31], v[153:154], v[30:31]
	v_fma_f64 v[141:142], v[141:142], v[4:5], v[167:168]
	v_fma_f64 v[143:144], v[143:144], v[4:5], -v[169:170]
	s_waitcnt vmcnt(15) lgkmcnt(2)
	v_mul_f64 v[165:166], v[163:164], v[22:23]
	v_mul_f64 v[167:168], v[161:162], v[22:23]
	v_fma_f64 v[149:150], v[149:150], v[16:17], v[12:13]
	ds_read_b128 v[10:13], v116 offset:43200
	v_mul_f64 v[114:115], v[157:158], v[26:27]
	v_mul_f64 v[4:5], v[159:160], v[26:27]
	v_fma_f64 v[145:146], v[145:146], v[0:1], v[171:172]
	v_fma_f64 v[147:148], v[147:148], v[0:1], -v[2:3]
	ds_read_b128 v[0:3], v116 offset:30240
	s_waitcnt lgkmcnt(2)
	v_mul_f64 v[169:170], v[8:9], v[34:35]
	v_mul_f64 v[34:35], v[6:7], v[34:35]
	v_fma_f64 v[153:154], v[153:154], v[28:29], v[18:19]
	v_fma_f64 v[155:156], v[155:156], v[28:29], -v[30:31]
	ds_read_b128 v[26:29], v116 offset:56160
	v_fma_f64 v[151:152], v[151:152], v[16:17], -v[14:15]
	ds_read_b128 v[14:17], v116 offset:19440
	v_fma_f64 v[161:162], v[161:162], v[20:21], v[165:166]
	v_fma_f64 v[163:164], v[163:164], v[20:21], -v[167:168]
	ds_read_b128 v[18:21], v116 offset:45360
	v_fma_f64 v[159:160], v[159:160], v[24:25], -v[114:115]
	s_waitcnt vmcnt(13) lgkmcnt(4)
	v_mul_f64 v[114:115], v[12:13], v[42:43]
	s_waitcnt lgkmcnt(3)
	v_mul_f64 v[30:31], v[2:3], v[46:47]
	v_mul_f64 v[46:47], v[0:1], v[46:47]
	;; [unrolled: 1-line block ×3, first 2 shown]
	v_fma_f64 v[157:158], v[157:158], v[24:25], v[4:5]
	ds_read_b128 v[22:25], v116 offset:32400
	v_fma_f64 v[165:166], v[6:7], v[32:33], v[169:170]
	ds_read_b128 v[4:7], v116 offset:58320
	v_fma_f64 v[167:168], v[8:9], v[32:33], -v[34:35]
	s_waitcnt vmcnt(12) lgkmcnt(4)
	v_mul_f64 v[8:9], v[28:29], v[38:39]
	v_mul_f64 v[32:33], v[26:27], v[38:39]
	s_waitcnt vmcnt(11) lgkmcnt(3)
	v_mul_f64 v[34:35], v[14:15], v[50:51]
	v_fma_f64 v[177:178], v[10:11], v[40:41], v[114:115]
	v_fma_f64 v[169:170], v[0:1], v[44:45], v[30:31]
	v_fma_f64 v[171:172], v[2:3], v[44:45], -v[46:47]
	v_mul_f64 v[30:31], v[16:17], v[50:51]
	s_waitcnt vmcnt(10) lgkmcnt(1)
	v_mul_f64 v[38:39], v[24:25], v[54:55]
	v_mul_f64 v[46:47], v[22:23], v[54:55]
	v_fma_f64 v[179:180], v[12:13], v[40:41], -v[42:43]
	s_waitcnt vmcnt(9)
	v_mul_f64 v[12:13], v[20:21], v[62:63]
	ds_read_b128 v[0:3], v116 offset:21600
	v_mul_f64 v[40:41], v[18:19], v[62:63]
	v_fma_f64 v[62:63], v[26:27], v[36:37], v[8:9]
	ds_read_b128 v[8:11], v116 offset:34560
	v_fma_f64 v[114:115], v[28:29], v[36:37], -v[32:33]
	ds_read_b128 v[26:29], v116 offset:47520
	s_waitcnt vmcnt(8) lgkmcnt(3)
	v_mul_f64 v[42:43], v[6:7], v[58:59]
	v_mul_f64 v[181:182], v[4:5], v[58:59]
	v_fma_f64 v[44:45], v[16:17], v[48:49], -v[34:35]
	ds_read_b128 v[32:35], v116 offset:23760
	v_fma_f64 v[50:51], v[14:15], v[48:49], v[30:31]
	v_fma_f64 v[54:55], v[22:23], v[52:53], v[38:39]
	v_fma_f64 v[46:47], v[24:25], v[52:53], -v[46:47]
	s_waitcnt vmcnt(7) lgkmcnt(3)
	v_mul_f64 v[14:15], v[2:3], v[66:67]
	v_mul_f64 v[16:17], v[0:1], v[66:67]
	v_fma_f64 v[52:53], v[18:19], v[60:61], v[12:13]
	s_waitcnt vmcnt(6) lgkmcnt(2)
	v_mul_f64 v[12:13], v[10:11], v[70:71]
	v_mul_f64 v[18:19], v[8:9], v[70:71]
	v_add_f64 v[24:25], v[137:138], v[141:142]
	s_waitcnt vmcnt(5) lgkmcnt(1)
	v_mul_f64 v[30:31], v[28:29], v[74:75]
	v_fma_f64 v[48:49], v[20:21], v[60:61], -v[40:41]
	ds_read_b128 v[36:39], v116 offset:60480
	ds_read_b128 v[58:61], v116 offset:36720
	v_fma_f64 v[42:43], v[4:5], v[56:57], v[42:43]
	v_fma_f64 v[40:41], v[6:7], v[56:57], -v[181:182]
	v_mul_f64 v[56:57], v[26:27], v[74:75]
	v_add_f64 v[66:67], v[139:140], v[143:144]
	v_add_f64 v[74:75], v[173:174], v[145:146]
	ds_read_b128 v[4:7], v116 offset:49680
	v_fma_f64 v[20:21], v[0:1], v[64:65], v[14:15]
	v_fma_f64 v[16:17], v[2:3], v[64:65], -v[16:17]
	ds_read_b128 v[0:3], v116 offset:62640
	v_fma_f64 v[22:23], v[8:9], v[68:69], v[12:13]
	v_fma_f64 v[18:19], v[10:11], v[68:69], -v[18:19]
	s_waitcnt vmcnt(4) lgkmcnt(3)
	v_mul_f64 v[64:65], v[38:39], v[82:83]
	v_mul_f64 v[70:71], v[36:37], v[82:83]
	v_fma_f64 v[24:25], v[24:25], -0.5, v[133:134]
	v_add_f64 v[68:69], v[175:176], -v[147:148]
	v_fma_f64 v[12:13], v[26:27], v[72:73], v[30:31]
	v_add_f64 v[26:27], v[133:134], v[173:174]
	v_fma_f64 v[14:15], v[28:29], v[72:73], -v[56:57]
	v_add_f64 v[28:29], v[175:176], v[147:148]
	v_add_f64 v[30:31], v[135:136], v[175:176]
	v_fma_f64 v[56:57], v[66:67], -0.5, v[135:136]
	v_add_f64 v[66:67], v[173:174], -v[145:146]
	v_fma_f64 v[74:75], v[74:75], -0.5, v[133:134]
	v_add_f64 v[82:83], v[137:138], -v[141:142]
	v_fma_f64 v[8:9], v[36:37], v[80:81], v[64:65]
	v_fma_f64 v[10:11], v[38:39], v[80:81], -v[70:71]
	v_add_f64 v[36:37], v[173:174], -v[137:138]
	v_add_f64 v[38:39], v[145:146], -v[141:142]
	;; [unrolled: 1-line block ×4, first 2 shown]
	v_fma_f64 v[72:73], v[68:69], s[10:11], v[24:25]
	v_add_f64 v[80:81], v[139:140], -v[143:144]
	v_fma_f64 v[24:25], v[68:69], s[12:13], v[24:25]
	v_add_f64 v[26:27], v[26:27], v[137:138]
	v_fma_f64 v[28:29], v[28:29], -0.5, v[135:136]
	v_add_f64 v[30:31], v[30:31], v[139:140]
	v_fma_f64 v[133:134], v[66:67], s[12:13], v[56:57]
	v_fma_f64 v[56:57], v[66:67], s[10:11], v[56:57]
	v_add_f64 v[135:136], v[137:138], -v[173:174]
	v_add_f64 v[137:138], v[141:142], -v[145:146]
	v_add_f64 v[139:140], v[139:140], -v[175:176]
	v_add_f64 v[173:174], v[143:144], -v[147:148]
	v_add_f64 v[36:37], v[36:37], v[38:39]
	s_waitcnt vmcnt(3)
	v_mul_f64 v[38:39], v[34:35], v[78:79]
	v_add_f64 v[70:71], v[64:65], v[70:71]
	v_mul_f64 v[78:79], v[32:33], v[78:79]
	v_fma_f64 v[64:65], v[80:81], s[4:5], v[72:73]
	v_fma_f64 v[72:73], v[80:81], s[6:7], v[24:25]
	;; [unrolled: 1-line block ×4, first 2 shown]
	v_add_f64 v[80:81], v[26:27], v[141:142]
	s_waitcnt vmcnt(2) lgkmcnt(2)
	v_mul_f64 v[26:27], v[60:61], v[90:91]
	v_add_f64 v[141:142], v[30:31], v[143:144]
	v_fma_f64 v[30:31], v[82:83], s[10:11], v[28:29]
	v_fma_f64 v[133:134], v[82:83], s[6:7], v[133:134]
	;; [unrolled: 1-line block ×4, first 2 shown]
	v_mul_f64 v[90:91], v[58:59], v[90:91]
	v_add_f64 v[135:136], v[135:136], v[137:138]
	s_waitcnt vmcnt(1) lgkmcnt(1)
	v_mul_f64 v[137:138], v[6:7], v[86:87]
	v_mul_f64 v[86:87], v[4:5], v[86:87]
	v_add_f64 v[139:140], v[139:140], v[173:174]
	v_fma_f64 v[32:33], v[32:33], v[76:77], v[38:39]
	v_fma_f64 v[28:29], v[34:35], v[76:77], -v[78:79]
	v_fma_f64 v[64:65], v[36:37], s[0:1], v[64:65]
	v_fma_f64 v[143:144], v[68:69], s[4:5], v[24:25]
	;; [unrolled: 1-line block ×5, first 2 shown]
	v_mad_i32_i24 v59, 0xffffff70, v102, v117
	v_fma_f64 v[173:174], v[66:67], s[6:7], v[30:31]
	v_mad_i32_i24 v58, 0xffffff70, v113, v118
	v_add_f64 v[72:73], v[80:81], v[145:146]
	v_fma_f64 v[38:39], v[66:67], s[4:5], v[82:83]
	v_fma_f64 v[30:31], v[60:61], v[88:89], -v[90:91]
	s_waitcnt vmcnt(0) lgkmcnt(0)
	v_mul_f64 v[88:89], v[2:3], v[94:95]
	v_fma_f64 v[24:25], v[4:5], v[84:85], v[137:138]
	v_add_f64 v[90:91], v[149:150], v[161:162]
	v_add_f64 v[137:138], v[151:152], v[163:164]
	v_fma_f64 v[66:67], v[70:71], s[0:1], v[133:134]
	v_mul_f64 v[94:95], v[0:1], v[94:95]
	v_add_f64 v[133:134], v[153:154], v[157:158]
	v_fma_f64 v[26:27], v[6:7], v[84:85], -v[86:87]
	ds_read_b128 v[4:7], v59
	ds_read_b128 v[84:87], v58
	v_fma_f64 v[70:71], v[70:71], s[0:1], v[56:57]
	v_mov_b32_e32 v56, 0x320
	v_mov_b32_e32 v60, 4
	v_add_f64 v[74:75], v[141:142], v[147:148]
	v_fma_f64 v[76:77], v[135:136], s[0:1], v[143:144]
	v_fma_f64 v[80:81], v[135:136], s[0:1], v[175:176]
	v_add_f64 v[135:136], v[155:156], v[159:160]
	v_fma_f64 v[78:79], v[139:140], s[0:1], v[173:174]
	v_add_f64 v[141:142], v[155:156], -v[151:152]
	v_add_f64 v[143:144], v[159:160], -v[163:164]
	v_fma_f64 v[82:83], v[139:140], s[0:1], v[38:39]
	v_add_f64 v[139:140], v[157:158], -v[161:162]
	v_fma_f64 v[36:37], v[0:1], v[92:93], v[88:89]
	v_mul_u32_u24_sdwa v0, v131, v56 dst_sel:DWORD dst_unused:UNUSED_PAD src0_sel:WORD_0 src1_sel:DWORD
	v_lshlrev_b32_sdwa v1, v60, v132 dst_sel:DWORD dst_unused:UNUSED_PAD src0_sel:DWORD src1_sel:BYTE_0
	v_add_f64 v[147:148], v[151:152], -v[163:164]
	v_lshl_add_u32 v57, v111, 4, 0
	v_fma_f64 v[38:39], v[2:3], v[92:93], -v[94:95]
	s_waitcnt lgkmcnt(1)
	v_fma_f64 v[88:89], v[90:91], -0.5, v[4:5]
	v_add_f64 v[90:91], v[155:156], -v[159:160]
	v_fma_f64 v[131:132], v[137:138], -0.5, v[6:7]
	v_add_f64 v[137:138], v[153:154], -v[157:158]
	v_add_f64 v[92:93], v[4:5], v[149:150]
	v_add_f64 v[94:95], v[153:154], -v[149:150]
	v_add_f64 v[145:146], v[6:7], v[151:152]
	v_fma_f64 v[133:134], v[133:134], -0.5, v[4:5]
	v_add3_u32 v61, 0, v0, v1
	v_lshl_add_u32 v56, v110, 4, 0
	v_fma_f64 v[135:136], v[135:136], -0.5, v[6:7]
	ds_read_b128 v[4:7], v57
	ds_read_b128 v[0:3], v56
	v_add_f64 v[173:174], v[149:150], -v[161:162]
	s_waitcnt lgkmcnt(0)
	s_barrier
	buffer_gl0_inv
	ds_write_b128 v61, v[72:75]
	v_add_f64 v[151:152], v[151:152], -v[155:156]
	ds_write_b128 v61, v[64:67] offset:160
	ds_write_b128 v61, v[76:79] offset:320
	;; [unrolled: 1-line block ×3, first 2 shown]
	v_add_f64 v[80:81], v[171:172], v[179:180]
	ds_write_b128 v61, v[68:71] offset:640
	v_fma_f64 v[72:73], v[90:91], s[12:13], v[88:89]
	v_fma_f64 v[88:89], v[90:91], s[10:11], v[88:89]
	;; [unrolled: 1-line block ×3, first 2 shown]
	v_add_f64 v[92:93], v[92:93], v[153:154]
	v_add_f64 v[94:95], v[94:95], v[139:140]
	v_fma_f64 v[131:132], v[137:138], s[12:13], v[131:132]
	v_add_f64 v[139:140], v[141:142], v[143:144]
	v_add_f64 v[141:142], v[145:146], v[155:156]
	v_add_f64 v[143:144], v[149:150], -v[153:154]
	v_add_f64 v[145:146], v[161:162], -v[157:158]
	v_fma_f64 v[149:150], v[147:148], s[10:11], v[133:134]
	v_add_f64 v[153:154], v[163:164], -v[159:160]
	v_fma_f64 v[133:134], v[147:148], s[12:13], v[133:134]
	v_fma_f64 v[155:156], v[173:174], s[12:13], v[135:136]
	;; [unrolled: 1-line block ×3, first 2 shown]
	v_mul_u32_u24_e32 v61, 0x320, v129
	v_fma_f64 v[72:73], v[147:148], s[4:5], v[72:73]
	v_fma_f64 v[88:89], v[147:148], s[6:7], v[88:89]
	v_add_f64 v[147:148], v[165:166], v[62:63]
	v_add_f64 v[92:93], v[92:93], v[157:158]
	;; [unrolled: 1-line block ×3, first 2 shown]
	v_fma_f64 v[131:132], v[173:174], s[4:5], v[131:132]
	v_fma_f64 v[74:75], v[173:174], s[6:7], v[74:75]
	v_add_f64 v[141:142], v[141:142], v[159:160]
	v_add_f64 v[159:160], v[62:63], -v[177:178]
	v_add_f64 v[143:144], v[143:144], v[145:146]
	v_fma_f64 v[145:146], v[90:91], s[4:5], v[149:150]
	v_add_f64 v[149:150], v[169:170], v[177:178]
	v_add_f64 v[151:152], v[151:152], v[153:154]
	v_fma_f64 v[153:154], v[137:138], s[6:7], v[155:156]
	v_add_f64 v[155:156], v[84:85], v[165:166]
	v_fma_f64 v[90:91], v[90:91], s[6:7], v[133:134]
	v_add_f64 v[133:134], v[86:87], v[167:168]
	v_fma_f64 v[64:65], v[94:95], s[0:1], v[72:73]
	v_fma_f64 v[68:69], v[94:95], s[0:1], v[88:89]
	v_fma_f64 v[82:83], v[147:148], -0.5, v[84:85]
	v_add_f64 v[88:89], v[171:172], -v[179:180]
	v_fma_f64 v[94:95], v[157:158], -0.5, v[86:87]
	v_add_f64 v[147:148], v[169:170], -v[177:178]
	v_fma_f64 v[70:71], v[139:140], s[0:1], v[131:132]
	v_add_f64 v[72:73], v[92:93], v[161:162]
	v_fma_f64 v[92:93], v[137:138], s[4:5], v[135:136]
	v_add_f64 v[131:132], v[167:168], -v[114:115]
	v_fma_f64 v[66:67], v[139:140], s[0:1], v[74:75]
	v_fma_f64 v[84:85], v[149:150], -0.5, v[84:85]
	v_add_f64 v[74:75], v[141:142], v[163:164]
	v_fma_f64 v[76:77], v[143:144], s[0:1], v[145:146]
	v_fma_f64 v[78:79], v[151:152], s[0:1], v[153:154]
	v_add_f64 v[135:136], v[169:170], -v[165:166]
	v_add_f64 v[137:138], v[177:178], -v[62:63]
	v_fma_f64 v[86:87], v[80:81], -0.5, v[86:87]
	v_add_f64 v[139:140], v[165:166], -v[62:63]
	v_lshlrev_b32_sdwa v163, v60, v130 dst_sel:DWORD dst_unused:UNUSED_PAD src0_sel:DWORD src1_sel:WORD_0
	v_add_f64 v[129:130], v[171:172], -v[167:168]
	v_add_f64 v[141:142], v[179:180], -v[114:115]
	v_add_f64 v[155:156], v[155:156], v[169:170]
	v_fma_f64 v[80:81], v[143:144], s[0:1], v[90:91]
	v_add_f64 v[133:134], v[133:134], v[171:172]
	v_fma_f64 v[145:146], v[88:89], s[12:13], v[82:83]
	v_fma_f64 v[149:150], v[88:89], s[10:11], v[82:83]
	;; [unrolled: 1-line block ×4, first 2 shown]
	v_add3_u32 v173, 0, v61, v163
	v_fma_f64 v[82:83], v[151:152], s[0:1], v[92:93]
	v_add_f64 v[92:93], v[167:168], -v[171:172]
	v_add_f64 v[151:152], v[114:115], -v[179:180]
	v_fma_f64 v[143:144], v[131:132], s[10:11], v[84:85]
	v_fma_f64 v[84:85], v[131:132], s[12:13], v[84:85]
	v_add_f64 v[157:158], v[165:166], -v[169:170]
	v_add_f64 v[161:162], v[50:51], v[42:43]
	v_add_f64 v[90:91], v[44:45], v[40:41]
	ds_write_b128 v173, v[72:75]
	ds_write_b128 v173, v[76:79] offset:160
	v_fma_f64 v[163:164], v[139:140], s[12:13], v[86:87]
	v_fma_f64 v[72:73], v[139:140], s[10:11], v[86:87]
	v_add_f64 v[74:75], v[135:136], v[137:138]
	v_add_f64 v[76:77], v[129:130], v[141:142]
	v_add_f64 v[141:142], v[54:55], -v[52:53]
	ds_write_b128 v173, v[64:67] offset:320
	ds_write_b128 v173, v[68:71] offset:480
	v_add_f64 v[167:168], v[50:51], -v[42:43]
	v_fma_f64 v[78:79], v[131:132], s[4:5], v[145:146]
	v_fma_f64 v[129:130], v[131:132], s[6:7], v[149:150]
	;; [unrolled: 1-line block ×4, first 2 shown]
	v_add_f64 v[131:132], v[155:156], v[177:178]
	v_add_f64 v[145:146], v[96:97], v[50:51]
	;; [unrolled: 1-line block ×4, first 2 shown]
	v_fma_f64 v[143:144], v[88:89], s[4:5], v[143:144]
	v_fma_f64 v[84:85], v[88:89], s[6:7], v[84:85]
	v_add_f64 v[88:89], v[133:134], v[179:180]
	v_add_f64 v[133:134], v[54:55], v[52:53]
	;; [unrolled: 1-line block ×4, first 2 shown]
	v_fma_f64 v[137:138], v[161:162], -0.5, v[96:97]
	v_add_f64 v[139:140], v[46:47], -v[48:49]
	v_fma_f64 v[90:91], v[90:91], -0.5, v[98:99]
	v_fma_f64 v[149:150], v[147:148], s[6:7], v[163:164]
	v_fma_f64 v[147:148], v[147:148], s[4:5], v[72:73]
	v_add_f64 v[163:164], v[44:45], -v[40:41]
	v_add_f64 v[155:156], v[54:55], -v[50:51]
	v_add_f64 v[157:158], v[52:53], -v[42:43]
	v_fma_f64 v[64:65], v[74:75], s[0:1], v[78:79]
	v_fma_f64 v[68:69], v[74:75], s[0:1], v[129:130]
	v_fma_f64 v[66:67], v[76:77], s[0:1], v[86:87]
	v_fma_f64 v[70:71], v[76:77], s[0:1], v[94:95]
	v_add_f64 v[72:73], v[131:132], v[62:63]
	v_mul_u32_u24_e32 v63, 0x320, v128
	v_add_f64 v[159:160], v[46:47], -v[44:45]
	v_add_f64 v[161:162], v[48:49], -v[40:41]
	;; [unrolled: 1-line block ×3, first 2 shown]
	v_add_f64 v[74:75], v[88:89], v[114:115]
	v_fma_f64 v[94:95], v[133:134], -0.5, v[96:97]
	v_add_f64 v[96:97], v[145:146], v[54:55]
	v_fma_f64 v[61:62], v[151:152], -0.5, v[98:99]
	v_add_f64 v[88:89], v[153:154], v[46:47]
	v_lshlrev_b32_sdwa v98, v60, v127 dst_sel:DWORD dst_unused:UNUSED_PAD src0_sel:DWORD src1_sel:WORD_0
	v_fma_f64 v[165:166], v[139:140], s[12:13], v[137:138]
	v_fma_f64 v[169:170], v[141:142], s[10:11], v[90:91]
	;; [unrolled: 1-line block ×6, first 2 shown]
	v_add3_u32 v147, 0, v63, v98
	v_add_f64 v[98:99], v[22:23], v[12:13]
	v_add_f64 v[127:128], v[18:19], v[14:15]
	v_fma_f64 v[90:91], v[141:142], s[12:13], v[90:91]
	v_add_f64 v[135:136], v[42:43], -v[52:53]
	v_add_f64 v[137:138], v[44:45], -v[46:47]
	;; [unrolled: 1-line block ×3, first 2 shown]
	v_fma_f64 v[78:79], v[92:93], s[0:1], v[149:150]
	v_add_f64 v[92:93], v[155:156], v[157:158]
	v_add_f64 v[114:115], v[159:160], v[161:162]
	ds_write_b128 v173, v[80:83] offset:640
	ds_write_b128 v147, v[72:75]
	ds_write_b128 v147, v[76:79] offset:160
	ds_write_b128 v147, v[64:67] offset:320
	;; [unrolled: 1-line block ×3, first 2 shown]
	v_fma_f64 v[54:55], v[163:164], s[10:11], v[94:95]
	v_add_f64 v[96:97], v[96:97], v[52:53]
	v_fma_f64 v[145:146], v[167:168], s[12:13], v[61:62]
	v_add_f64 v[88:89], v[88:89], v[48:49]
	v_fma_f64 v[94:95], v[163:164], s[12:13], v[94:95]
	v_fma_f64 v[61:62], v[167:168], s[10:11], v[61:62]
	;; [unrolled: 1-line block ×5, first 2 shown]
	v_fma_f64 v[63:64], v[98:99], -0.5, v[4:5]
	v_add_f64 v[65:66], v[16:17], -v[10:11]
	v_fma_f64 v[67:68], v[127:128], -0.5, v[6:7]
	v_add_f64 v[69:70], v[20:21], -v[8:9]
	ds_write_b128 v147, v[84:87] offset:640
	v_fma_f64 v[71:72], v[167:168], s[4:5], v[90:91]
	v_add_f64 v[73:74], v[50:51], v[135:136]
	v_add_f64 v[75:76], v[137:138], v[143:144]
	v_add_f64 v[83:84], v[20:21], -v[22:23]
	v_add_f64 v[85:86], v[8:9], -v[12:13]
	;; [unrolled: 1-line block ×3, first 2 shown]
	v_add_f64 v[52:53], v[96:97], v[42:43]
	v_fma_f64 v[42:43], v[139:140], s[4:5], v[54:55]
	v_fma_f64 v[77:78], v[141:142], s[6:7], v[145:146]
	v_add_f64 v[54:55], v[88:89], v[40:41]
	v_fma_f64 v[79:80], v[139:140], s[6:7], v[94:95]
	v_add_f64 v[87:88], v[20:21], v[8:9]
	v_fma_f64 v[81:82], v[141:142], s[4:5], v[61:62]
	v_mul_u32_u24_e32 v61, 0x320, v126
	v_lshlrev_b32_sdwa v62, v60, v125 dst_sel:DWORD dst_unused:UNUSED_PAD src0_sel:DWORD src1_sel:WORD_0
	v_fma_f64 v[44:45], v[92:93], s[0:1], v[131:132]
	v_fma_f64 v[46:47], v[114:115], s[0:1], v[133:134]
	;; [unrolled: 1-line block ×3, first 2 shown]
	v_add_f64 v[89:90], v[16:17], -v[18:19]
	v_add3_u32 v99, 0, v61, v62
	v_add_f64 v[91:92], v[10:11], -v[14:15]
	v_fma_f64 v[93:94], v[65:66], s[10:11], v[63:64]
	v_add_f64 v[95:96], v[18:19], -v[14:15]
	v_fma_f64 v[97:98], v[69:70], s[12:13], v[67:68]
	v_add_f64 v[126:127], v[16:17], v[10:11]
	v_add_f64 v[128:129], v[22:23], -v[12:13]
	v_add_f64 v[132:133], v[34:35], v[24:25]
	v_add_f64 v[134:135], v[30:31], v[26:27]
	v_fma_f64 v[50:51], v[114:115], s[0:1], v[71:72]
	v_fma_f64 v[40:41], v[73:74], s[0:1], v[42:43]
	;; [unrolled: 1-line block ×3, first 2 shown]
	v_add_f64 v[71:72], v[32:33], v[36:37]
	v_add_f64 v[77:78], v[4:5], v[20:21]
	v_fma_f64 v[61:62], v[73:74], s[0:1], v[79:80]
	v_add_f64 v[73:74], v[28:29], v[38:39]
	v_fma_f64 v[4:5], v[87:88], -0.5, v[4:5]
	ds_write_b128 v99, v[52:55]
	v_add_f64 v[52:53], v[6:7], v[16:17]
	v_fma_f64 v[130:131], v[65:66], s[12:13], v[63:64]
	v_fma_f64 v[67:68], v[69:70], s[10:11], v[67:68]
	;; [unrolled: 1-line block ×3, first 2 shown]
	v_add_f64 v[54:55], v[83:84], v[85:86]
	v_add_f64 v[75:76], v[89:90], v[91:92]
	v_add_f64 v[87:88], v[28:29], -v[38:39]
	v_fma_f64 v[79:80], v[95:96], s[4:5], v[93:94]
	v_add_f64 v[91:92], v[32:33], -v[36:37]
	v_fma_f64 v[6:7], v[126:127], -0.5, v[6:7]
	v_fma_f64 v[81:82], v[128:129], s[6:7], v[97:98]
	v_fma_f64 v[85:86], v[132:133], -0.5, v[0:1]
	v_fma_f64 v[89:90], v[134:135], -0.5, v[2:3]
	v_add_f64 v[93:94], v[0:1], v[32:33]
	v_add_f64 v[97:98], v[30:31], -v[26:27]
	v_add_f64 v[20:21], v[22:23], -v[20:21]
	v_fma_f64 v[0:1], v[71:72], -0.5, v[0:1]
	v_add_f64 v[71:72], v[2:3], v[28:29]
	v_add_f64 v[77:78], v[77:78], v[22:23]
	v_add_f64 v[22:23], v[34:35], -v[24:25]
	v_fma_f64 v[2:3], v[73:74], -0.5, v[2:3]
	v_fma_f64 v[73:74], v[95:96], s[12:13], v[4:5]
	v_add_f64 v[52:53], v[52:53], v[18:19]
	v_fma_f64 v[83:84], v[95:96], s[6:7], v[130:131]
	v_fma_f64 v[67:68], v[128:129], s[4:5], v[67:68]
	;; [unrolled: 1-line block ×3, first 2 shown]
	v_add_f64 v[95:96], v[12:13], -v[8:9]
	v_add_f64 v[16:17], v[18:19], -v[16:17]
	v_add_f64 v[18:19], v[14:15], -v[10:11]
	v_add_f64 v[125:126], v[32:33], -v[34:35]
	v_add_f64 v[131:132], v[38:39], -v[26:27]
	v_fma_f64 v[114:115], v[128:129], s[10:11], v[6:7]
	v_fma_f64 v[6:7], v[128:129], s[12:13], v[6:7]
	v_add_f64 v[127:128], v[36:37], -v[24:25]
	v_add_f64 v[129:130], v[28:29], -v[30:31]
	v_add_f64 v[93:94], v[93:94], v[34:35]
	v_add_f64 v[32:33], v[34:35], -v[32:33]
	v_add_f64 v[28:29], v[30:31], -v[28:29]
	v_fma_f64 v[34:35], v[97:98], s[12:13], v[0:1]
	v_add_f64 v[71:72], v[71:72], v[30:31]
	v_add_f64 v[30:31], v[26:27], -v[38:39]
	v_add_f64 v[12:13], v[77:78], v[12:13]
	v_fma_f64 v[139:140], v[22:23], s[10:11], v[2:3]
	v_fma_f64 v[77:78], v[91:92], s[10:11], v[89:90]
	v_add_f64 v[14:15], v[52:53], v[14:15]
	v_fma_f64 v[52:53], v[65:66], s[4:5], v[73:74]
	v_fma_f64 v[73:74], v[87:88], s[12:13], v[85:86]
	;; [unrolled: 1-line block ×6, first 2 shown]
	v_add_f64 v[20:21], v[20:21], v[95:96]
	v_fma_f64 v[65:66], v[65:66], s[6:7], v[4:5]
	v_add_f64 v[18:19], v[16:17], v[18:19]
	v_fma_f64 v[16:17], v[69:70], s[6:7], v[114:115]
	v_fma_f64 v[69:70], v[69:70], s[4:5], v[6:7]
	v_add_f64 v[85:86], v[125:126], v[127:128]
	v_add_f64 v[89:90], v[129:130], v[131:132]
	v_add_f64 v[24:25], v[93:94], v[24:25]
	v_add_f64 v[32:33], v[32:33], v[137:138]
	v_fma_f64 v[34:35], v[87:88], s[4:5], v[34:35]
	v_add_f64 v[26:27], v[71:72], v[26:27]
	v_add_f64 v[71:72], v[28:29], v[30:31]
	ds_write_b128 v99, v[40:43] offset:160
	ds_write_b128 v99, v[44:47] offset:320
	v_fma_f64 v[30:31], v[91:92], s[6:7], v[139:140]
	v_fma_f64 v[42:43], v[22:23], s[4:5], v[77:78]
	v_add_f64 v[8:9], v[12:13], v[8:9]
	v_add_f64 v[10:11], v[14:15], v[10:11]
	v_fma_f64 v[40:41], v[97:98], s[6:7], v[73:74]
	v_fma_f64 v[95:96], v[97:98], s[4:5], v[133:134]
	;; [unrolled: 1-line block ×7, first 2 shown]
	v_mul_u32_u24_e32 v44, 0x320, v123
	v_lshlrev_b32_sdwa v45, v60, v124 dst_sel:DWORD dst_unused:UNUSED_PAD src0_sel:DWORD src1_sel:WORD_0
	v_mul_lo_u16 v46, v103, 41
	v_fma_f64 v[12:13], v[20:21], s[0:1], v[52:53]
	v_fma_f64 v[14:15], v[18:19], s[0:1], v[16:17]
	;; [unrolled: 1-line block ×4, first 2 shown]
	v_add_f64 v[24:25], v[24:25], v[36:37]
	v_add_f64 v[26:27], v[26:27], v[38:39]
	v_fma_f64 v[28:29], v[32:33], s[0:1], v[34:35]
	v_fma_f64 v[4:5], v[54:55], s[0:1], v[83:84]
	;; [unrolled: 1-line block ×5, first 2 shown]
	v_lshrrev_b16 v43, 11, v46
	v_fma_f64 v[36:37], v[85:86], s[0:1], v[40:41]
	v_fma_f64 v[20:21], v[85:86], s[0:1], v[95:96]
	;; [unrolled: 1-line block ×5, first 2 shown]
	v_add3_u32 v40, 0, v44, v45
	ds_write_b128 v99, v[48:51] offset:480
	ds_write_b128 v99, v[61:64] offset:640
	ds_write_b128 v40, v[8:11]
	ds_write_b128 v40, v[0:3] offset:160
	v_mul_lo_u16 v0, v43, 50
	v_lshrrev_b16 v2, 1, v102
	v_mov_b32_e32 v49, 0x147b
	v_mul_u32_u24_e32 v41, 0x320, v121
	v_lshlrev_b32_sdwa v42, v60, v122 dst_sel:DWORD dst_unused:UNUSED_PAD src0_sel:DWORD src1_sel:WORD_0
	v_sub_nc_u16 v48, v100, v0
	v_mov_b32_e32 v51, 5
	v_mul_u32_u24_sdwa v0, v2, v49 dst_sel:DWORD dst_unused:UNUSED_PAD src0_sel:WORD_0 src1_sel:DWORD
	ds_write_b128 v40, v[12:15] offset:320
	v_add3_u32 v1, 0, v41, v42
	ds_write_b128 v40, v[16:19] offset:480
	ds_write_b128 v40, v[4:7] offset:640
	v_lshlrev_b32_sdwa v2, v51, v48 dst_sel:DWORD dst_unused:UNUSED_PAD src0_sel:DWORD src1_sel:BYTE_0
	v_lshrrev_b32_e32 v46, 17, v0
	ds_write_b128 v1, v[24:27]
	ds_write_b128 v1, v[20:23] offset:160
	ds_write_b128 v1, v[28:31] offset:320
	ds_write_b128 v1, v[32:35] offset:480
	ds_write_b128 v1, v[36:39] offset:640
	s_waitcnt lgkmcnt(0)
	s_barrier
	buffer_gl0_inv
	s_clause 0x1
	global_load_dwordx4 v[24:27], v2, s[8:9] offset:640
	global_load_dwordx4 v[64:67], v2, s[8:9] offset:656
	v_mul_lo_u16 v0, v46, 50
	v_lshrrev_b16 v34, 1, v113
	v_lshrrev_b16 v35, 1, v112
	;; [unrolled: 1-line block ×4, first 2 shown]
	v_sub_nc_u16 v62, v102, v0
	v_mul_u32_u24_sdwa v1, v34, v49 dst_sel:DWORD dst_unused:UNUSED_PAD src0_sel:WORD_0 src1_sel:DWORD
	v_lshrrev_b16 v31, 1, v109
	v_lshrrev_b16 v30, 1, v108
	v_lshrrev_b16 v28, 1, v107
	v_lshlrev_b32_sdwa v0, v51, v62 dst_sel:DWORD dst_unused:UNUSED_PAD src0_sel:DWORD src1_sel:WORD_0
	v_lshrrev_b32_e32 v36, 17, v1
	v_mul_u32_u24_sdwa v8, v31, v49 dst_sel:DWORD dst_unused:UNUSED_PAD src0_sel:WORD_0 src1_sel:DWORD
	v_lshrrev_b16 v29, 1, v106
	v_mul_u32_u24_sdwa v50, v28, v49 dst_sel:DWORD dst_unused:UNUSED_PAD src0_sel:WORD_0 src1_sel:DWORD
	s_clause 0x1
	global_load_dwordx4 v[68:71], v0, s[8:9] offset:640
	global_load_dwordx4 v[72:75], v0, s[8:9] offset:656
	v_mul_u32_u24_sdwa v0, v35, v49 dst_sel:DWORD dst_unused:UNUSED_PAD src0_sel:WORD_0 src1_sel:DWORD
	v_mul_lo_u16 v1, v36, 50
	v_lshrrev_b32_e32 v39, 17, v8
	v_lshrrev_b32_e32 v61, 17, v50
	s_mov_b32 s4, 0xe8584caa
	v_lshrrev_b32_e32 v40, 17, v0
	v_sub_nc_u16 v44, v113, v1
	v_mul_u32_u24_sdwa v0, v33, v49 dst_sel:DWORD dst_unused:UNUSED_PAD src0_sel:WORD_0 src1_sel:DWORD
	v_mul_lo_u16 v8, v39, 50
	v_mul_lo_u16 v50, v61, 50
	;; [unrolled: 1-line block ×3, first 2 shown]
	v_lshlrev_b32_sdwa v1, v51, v44 dst_sel:DWORD dst_unused:UNUSED_PAD src0_sel:DWORD src1_sel:WORD_0
	v_lshrrev_b32_e32 v41, 17, v0
	v_sub_nc_u16 v45, v109, v8
	v_mul_u32_u24_sdwa v8, v30, v49 dst_sel:DWORD dst_unused:UNUSED_PAD src0_sel:WORD_0 src1_sel:DWORD
	v_sub_nc_u16 v42, v112, v2
	s_clause 0x1
	global_load_dwordx4 v[76:79], v1, s[8:9] offset:640
	global_load_dwordx4 v[80:83], v1, s[8:9] offset:656
	v_mul_lo_u16 v0, v41, 50
	v_lshlrev_b32_sdwa v20, v51, v45 dst_sel:DWORD dst_unused:UNUSED_PAD src0_sel:DWORD src1_sel:WORD_0
	v_lshlrev_b32_sdwa v1, v51, v42 dst_sel:DWORD dst_unused:UNUSED_PAD src0_sel:DWORD src1_sel:WORD_0
	s_clause 0x1
	global_load_dwordx4 v[84:87], v1, s[8:9] offset:640
	global_load_dwordx4 v[88:91], v1, s[8:9] offset:656
	v_sub_nc_u16 v37, v111, v0
	v_mul_u32_u24_sdwa v1, v32, v49 dst_sel:DWORD dst_unused:UNUSED_PAD src0_sel:WORD_0 src1_sel:DWORD
	v_lshrrev_b32_e32 v38, 17, v8
	v_mul_u32_u24_sdwa v49, v29, v49 dst_sel:DWORD dst_unused:UNUSED_PAD src0_sel:WORD_0 src1_sel:DWORD
	v_sub_nc_u16 v63, v107, v50
	v_lshlrev_b32_sdwa v0, v51, v37 dst_sel:DWORD dst_unused:UNUSED_PAD src0_sel:DWORD src1_sel:WORD_0
	v_lshrrev_b32_e32 v52, 17, v1
	v_mul_lo_u16 v21, v38, 50
	s_mov_b32 s5, 0xbfebb67a
	v_lshlrev_b32_sdwa v50, v51, v63 dst_sel:DWORD dst_unused:UNUSED_PAD src0_sel:DWORD src1_sel:WORD_0
	s_clause 0x1
	global_load_dwordx4 v[4:7], v0, s[8:9] offset:640
	global_load_dwordx4 v[0:3], v0, s[8:9] offset:656
	v_mul_lo_u16 v9, v52, 50
	v_sub_nc_u16 v47, v108, v21
	s_mov_b32 s7, 0x3febb67a
	s_mov_b32 s6, s4
	v_lshlrev_b32_sdwa v48, v60, v48 dst_sel:DWORD dst_unused:UNUSED_PAD src0_sel:DWORD src1_sel:BYTE_0
	v_sub_nc_u16 v53, v110, v9
	v_lshlrev_b32_sdwa v54, v51, v47 dst_sel:DWORD dst_unused:UNUSED_PAD src0_sel:DWORD src1_sel:WORD_0
	v_mul_u32_u24_e32 v46, 0x960, v46
	v_lshlrev_b32_sdwa v62, v60, v62 dst_sel:DWORD dst_unused:UNUSED_PAD src0_sel:DWORD src1_sel:WORD_0
	v_mul_u32_u24_e32 v36, 0x960, v36
	v_lshlrev_b32_sdwa v9, v51, v53 dst_sel:DWORD dst_unused:UNUSED_PAD src0_sel:DWORD src1_sel:WORD_0
	s_clause 0x5
	global_load_dwordx4 v[16:19], v9, s[8:9] offset:640
	global_load_dwordx4 v[12:15], v9, s[8:9] offset:656
	;; [unrolled: 1-line block ×6, first 2 shown]
	v_lshrrev_b32_e32 v54, 17, v49
	global_load_dwordx4 v[121:124], v50, s[8:9] offset:640
	v_add3_u32 v46, 0, v46, v62
	v_lshlrev_b32_sdwa v37, v60, v37 dst_sel:DWORD dst_unused:UNUSED_PAD src0_sel:DWORD src1_sel:WORD_0
	v_mul_u32_u24_e32 v62, 0x960, v39
	v_mul_lo_u16 v49, v54, 50
	s_add_u32 s1, s8, 0xfc80
	v_sub_nc_u16 v55, v106, v49
	v_lshlrev_b32_sdwa v49, v51, v55 dst_sel:DWORD dst_unused:UNUSED_PAD src0_sel:DWORD src1_sel:WORD_0
	s_clause 0x2
	global_load_dwordx4 v[125:128], v50, s[8:9] offset:656
	global_load_dwordx4 v[129:132], v49, s[8:9] offset:640
	;; [unrolled: 1-line block ×3, first 2 shown]
	ds_read_b128 v[137:140], v116 offset:21600
	ds_read_b128 v[141:144], v116 offset:43200
	;; [unrolled: 1-line block ×3, first 2 shown]
	ds_read_b128 v[149:152], v116
	ds_read_b128 v[153:156], v116 offset:45360
	ds_read_b128 v[161:164], v116 offset:47520
	;; [unrolled: 1-line block ×3, first 2 shown]
	s_waitcnt vmcnt(19) lgkmcnt(6)
	v_mul_f64 v[49:50], v[139:140], v[26:27]
	v_mul_f64 v[26:27], v[137:138], v[26:27]
	s_waitcnt vmcnt(18) lgkmcnt(5)
	v_mul_f64 v[114:115], v[143:144], v[66:67]
	v_mul_f64 v[66:67], v[141:142], v[66:67]
	;; [unrolled: 3-line block ×4, first 2 shown]
	v_fma_f64 v[49:50], v[137:138], v[24:25], v[49:50]
	v_fma_f64 v[169:170], v[139:140], v[24:25], -v[26:27]
	ds_read_b128 v[24:27], v116 offset:28080
	v_fma_f64 v[114:115], v[141:142], v[64:65], v[114:115]
	ds_read_b128 v[137:140], v116 offset:49680
	v_fma_f64 v[143:144], v[143:144], v[64:65], -v[66:67]
	ds_read_b128 v[64:67], v116 offset:30240
	s_waitcnt vmcnt(15) lgkmcnt(3)
	v_mul_f64 v[141:142], v[159:160], v[78:79]
	v_mul_f64 v[78:79], v[157:158], v[78:79]
	s_waitcnt vmcnt(14)
	v_mul_f64 v[171:172], v[163:164], v[82:83]
	v_mul_f64 v[82:83], v[161:162], v[82:83]
	v_fma_f64 v[145:146], v[145:146], v[68:69], v[165:166]
	v_fma_f64 v[147:148], v[147:148], v[68:69], -v[70:71]
	ds_read_b128 v[68:71], v116 offset:51840
	v_fma_f64 v[153:154], v[153:154], v[72:73], v[167:168]
	v_fma_f64 v[155:156], v[155:156], v[72:73], -v[74:75]
	s_waitcnt vmcnt(13) lgkmcnt(3)
	v_mul_f64 v[165:166], v[26:27], v[86:87]
	v_mul_f64 v[86:87], v[24:25], v[86:87]
	s_waitcnt vmcnt(12) lgkmcnt(2)
	v_mul_f64 v[167:168], v[139:140], v[90:91]
	v_mul_f64 v[90:91], v[137:138], v[90:91]
	ds_read_b128 v[72:75], v116 offset:32400
	v_fma_f64 v[141:142], v[157:158], v[76:77], v[141:142]
	v_fma_f64 v[157:158], v[159:160], v[76:77], -v[78:79]
	ds_read_b128 v[76:79], v116 offset:54000
	v_fma_f64 v[161:162], v[161:162], v[80:81], v[171:172]
	s_waitcnt vmcnt(10) lgkmcnt(2)
	v_mul_f64 v[173:174], v[70:71], v[2:3]
	v_mul_f64 v[175:176], v[68:69], v[2:3]
	v_fma_f64 v[163:164], v[163:164], v[80:81], -v[82:83]
	ds_read_b128 v[80:83], v116 offset:34560
	v_fma_f64 v[24:25], v[24:25], v[84:85], v[165:166]
	v_fma_f64 v[26:27], v[26:27], v[84:85], -v[86:87]
	ds_read_b128 v[84:87], v119
	v_mul_f64 v[159:160], v[66:67], v[6:7]
	v_mul_f64 v[171:172], v[64:65], v[6:7]
	v_fma_f64 v[2:3], v[137:138], v[88:89], v[167:168]
	v_fma_f64 v[6:7], v[139:140], v[88:89], -v[90:91]
	ds_read_b128 v[88:91], v116 offset:56160
	v_fma_f64 v[167:168], v[68:69], v[0:1], v[173:174]
	v_fma_f64 v[0:1], v[70:71], v[0:1], -v[175:176]
	ds_read_b128 v[68:71], v116 offset:58320
	s_waitcnt vmcnt(8) lgkmcnt(4)
	v_mul_f64 v[165:166], v[76:77], v[14:15]
	v_fma_f64 v[139:140], v[64:65], v[4:5], v[159:160]
	v_mul_f64 v[159:160], v[78:79], v[14:15]
	v_fma_f64 v[4:5], v[66:67], v[4:5], -v[171:172]
	ds_read_b128 v[64:67], v116 offset:36720
	s_waitcnt vmcnt(7) lgkmcnt(4)
	v_mul_f64 v[171:172], v[82:83], v[10:11]
	v_mul_f64 v[173:174], v[80:81], v[10:11]
	v_fma_f64 v[165:166], v[78:79], v[12:13], -v[165:166]
	v_fma_f64 v[159:160], v[76:77], v[12:13], v[159:160]
	ds_read_b128 v[10:13], v116 offset:60480
	v_mul_f64 v[137:138], v[74:75], v[18:19]
	v_mul_f64 v[18:19], v[72:73], v[18:19]
	v_fma_f64 v[171:172], v[80:81], v[8:9], v[171:172]
	s_waitcnt vmcnt(4) lgkmcnt(2)
	v_mul_f64 v[80:81], v[70:71], v[98:99]
	v_fma_f64 v[173:174], v[82:83], v[8:9], -v[173:174]
	v_mul_f64 v[8:9], v[68:69], v[98:99]
	v_add_f64 v[82:83], v[49:50], v[114:115]
	v_add_f64 v[98:99], v[147:148], -v[155:156]
	v_fma_f64 v[137:138], v[72:73], v[16:17], v[137:138]
	v_fma_f64 v[177:178], v[74:75], v[16:17], -v[18:19]
	ds_read_b128 v[14:17], v116 offset:38880
	v_mul_f64 v[175:176], v[90:91], v[22:23]
	v_mul_f64 v[22:23], v[88:89], v[22:23]
	s_waitcnt lgkmcnt(2)
	v_mul_f64 v[18:19], v[66:67], v[94:95]
	v_mul_f64 v[94:95], v[64:65], v[94:95]
	ds_read_b128 v[72:75], v116 offset:41040
	ds_read_b128 v[76:79], v116 offset:62640
	v_fma_f64 v[175:176], v[88:89], v[20:21], v[175:176]
	v_fma_f64 v[179:180], v[90:91], v[20:21], -v[22:23]
	s_waitcnt vmcnt(3) lgkmcnt(2)
	v_mul_f64 v[20:21], v[16:17], v[123:124]
	v_mul_f64 v[22:23], v[14:15], v[123:124]
	v_fma_f64 v[123:124], v[64:65], v[92:93], v[18:19]
	v_fma_f64 v[181:182], v[66:67], v[92:93], -v[94:95]
	s_waitcnt vmcnt(2)
	v_mul_f64 v[18:19], v[12:13], v[127:128]
	v_mul_f64 v[64:65], v[10:11], v[127:128]
	s_waitcnt vmcnt(1) lgkmcnt(1)
	v_mul_f64 v[66:67], v[74:75], v[131:132]
	v_fma_f64 v[127:128], v[68:69], v[96:97], v[80:81]
	v_mul_f64 v[68:69], v[72:73], v[131:132]
	v_fma_f64 v[131:132], v[70:71], v[96:97], -v[8:9]
	v_add_f64 v[70:71], v[169:170], v[143:144]
	s_waitcnt vmcnt(0) lgkmcnt(0)
	v_mul_f64 v[8:9], v[78:79], v[135:136]
	v_add_f64 v[88:89], v[151:152], v[169:170]
	v_add_f64 v[90:91], v[149:150], v[49:50]
	v_mul_f64 v[80:81], v[76:77], v[135:136]
	v_add_f64 v[49:50], v[49:50], -v[114:115]
	v_add_f64 v[92:93], v[157:158], v[163:164]
	v_fma_f64 v[135:136], v[14:15], v[121:122], v[20:21]
	v_fma_f64 v[121:122], v[16:17], v[121:122], -v[22:23]
	v_fma_f64 v[22:23], v[82:83], -0.5, v[149:150]
	v_add_f64 v[82:83], v[169:170], -v[143:144]
	v_fma_f64 v[149:150], v[10:11], v[125:126], v[18:19]
	v_fma_f64 v[125:126], v[12:13], v[125:126], -v[64:65]
	v_add_f64 v[64:65], v[145:146], v[153:154]
	v_fma_f64 v[169:170], v[72:73], v[129:130], v[66:67]
	v_add_f64 v[66:67], v[147:148], v[155:156]
	ds_read_b128 v[14:17], v59
	ds_read_b128 v[18:21], v58
	v_fma_f64 v[129:130], v[74:75], v[129:130], -v[68:69]
	v_fma_f64 v[68:69], v[70:71], -0.5, v[151:152]
	v_fma_f64 v[183:184], v[76:77], v[133:134], v[8:9]
	v_add_f64 v[10:11], v[88:89], v[143:144]
	v_add_f64 v[8:9], v[90:91], v[114:115]
	v_add_f64 v[90:91], v[141:142], v[161:162]
	v_add_f64 v[143:144], v[145:146], -v[153:154]
	v_mov_b32_e32 v70, 0x960
	v_fma_f64 v[133:134], v[78:79], v[133:134], -v[80:81]
	v_mul_u32_u24_sdwa v43, v43, v70 dst_sel:DWORD dst_unused:UNUSED_PAD src0_sel:WORD_0 src1_sel:DWORD
	v_fma_f64 v[12:13], v[82:83], s[4:5], v[22:23]
	v_add3_u32 v43, 0, v43, v48
	s_waitcnt lgkmcnt(1)
	v_add_f64 v[88:89], v[16:17], v[147:148]
	v_add_f64 v[96:97], v[14:15], v[145:146]
	v_fma_f64 v[94:95], v[64:65], -0.5, v[14:15]
	v_fma_f64 v[114:115], v[66:67], -0.5, v[16:17]
	v_fma_f64 v[64:65], v[82:83], s[6:7], v[22:23]
	v_fma_f64 v[66:67], v[49:50], s[4:5], v[68:69]
	;; [unrolled: 1-line block ×3, first 2 shown]
	s_waitcnt lgkmcnt(0)
	v_add_f64 v[147:148], v[20:21], v[157:158]
	v_add_f64 v[157:158], v[157:158], -v[163:164]
	v_fma_f64 v[145:146], v[90:91], -0.5, v[18:19]
	v_add_f64 v[151:152], v[18:19], v[141:142]
	v_add_f64 v[141:142], v[141:142], -v[161:162]
	v_lshl_add_u32 v50, v108, 4, 0
	v_lshl_add_u32 v49, v107, 4, 0
	;; [unrolled: 1-line block ×3, first 2 shown]
	ds_read_b128 v[68:71], v120
	ds_read_b128 v[72:75], v57
	;; [unrolled: 1-line block ×4, first 2 shown]
	v_add_f64 v[22:23], v[88:89], v[155:156]
	v_fma_f64 v[155:156], v[92:93], -0.5, v[20:21]
	v_add_f64 v[20:21], v[96:97], v[153:154]
	v_fma_f64 v[16:17], v[98:99], s[4:5], v[94:95]
	v_fma_f64 v[18:19], v[143:144], s[6:7], v[114:115]
	;; [unrolled: 1-line block ×3, first 2 shown]
	v_add_f64 v[114:115], v[24:25], v[2:3]
	v_add_f64 v[143:144], v[26:27], v[6:7]
	v_fma_f64 v[88:89], v[98:99], s[6:7], v[94:95]
	ds_read_b128 v[92:95], v49
	ds_read_b128 v[96:99], v48
	s_waitcnt lgkmcnt(0)
	s_barrier
	buffer_gl0_inv
	ds_write_b128 v43, v[8:11]
	ds_write_b128 v43, v[12:15] offset:800
	ds_write_b128 v43, v[64:67] offset:1600
	v_add_f64 v[64:65], v[139:140], v[167:168]
	v_add_f64 v[66:67], v[4:5], v[0:1]
	v_fma_f64 v[12:13], v[157:158], s[4:5], v[145:146]
	v_lshlrev_b32_sdwa v43, v60, v44 dst_sel:DWORD dst_unused:UNUSED_PAD src0_sel:DWORD src1_sel:WORD_0
	v_add_f64 v[10:11], v[147:148], v[163:164]
	v_add_f64 v[8:9], v[151:152], v[161:162]
	v_fma_f64 v[14:15], v[141:142], s[6:7], v[155:156]
	ds_write_b128 v46, v[20:23]
	v_fma_f64 v[20:21], v[157:158], s[6:7], v[145:146]
	v_add_f64 v[145:146], v[137:138], v[159:160]
	ds_write_b128 v46, v[16:19] offset:800
	v_add_f64 v[16:17], v[177:178], v[165:166]
	v_fma_f64 v[22:23], v[141:142], s[4:5], v[155:156]
	v_add_f64 v[141:142], v[70:71], v[26:27]
	v_add_f64 v[18:19], v[68:69], v[24:25]
	v_add3_u32 v36, 0, v36, v43
	v_fma_f64 v[43:44], v[114:115], -0.5, v[68:69]
	v_add_f64 v[26:27], v[26:27], -v[6:7]
	v_fma_f64 v[68:69], v[143:144], -0.5, v[70:71]
	v_add_f64 v[24:25], v[24:25], -v[2:3]
	v_add_f64 v[70:71], v[74:75], v[4:5]
	ds_write_b128 v46, v[88:91] offset:1600
	v_add_f64 v[88:89], v[72:73], v[139:140]
	v_fma_f64 v[64:65], v[64:65], -0.5, v[72:73]
	v_add_f64 v[72:73], v[4:5], -v[0:1]
	v_fma_f64 v[66:67], v[66:67], -0.5, v[74:75]
	v_add_f64 v[74:75], v[139:140], -v[167:168]
	v_add_f64 v[114:115], v[78:79], v[177:178]
	v_add_f64 v[139:140], v[177:178], -v[165:166]
	v_add_f64 v[143:144], v[173:174], v[179:180]
	ds_write_b128 v36, v[8:11]
	v_fma_f64 v[90:91], v[145:146], -0.5, v[76:77]
	v_add_f64 v[76:77], v[76:77], v[137:138]
	v_fma_f64 v[78:79], v[16:17], -0.5, v[78:79]
	v_add_f64 v[137:138], v[137:138], -v[159:160]
	v_add_f64 v[4:5], v[141:142], v[6:7]
	v_add_f64 v[2:3], v[18:19], v[2:3]
	;; [unrolled: 1-line block ×3, first 2 shown]
	ds_write_b128 v36, v[12:15] offset:800
	v_fma_f64 v[6:7], v[26:27], s[4:5], v[43:44]
	v_fma_f64 v[10:11], v[26:27], s[6:7], v[43:44]
	;; [unrolled: 1-line block ×3, first 2 shown]
	v_add_f64 v[16:17], v[70:71], v[0:1]
	v_mul_u32_u24_e32 v0, 0x960, v40
	v_lshlrev_b32_sdwa v1, v60, v42 dst_sel:DWORD dst_unused:UNUSED_PAD src0_sel:DWORD src1_sel:WORD_0
	v_fma_f64 v[12:13], v[24:25], s[4:5], v[68:69]
	v_add_f64 v[14:15], v[88:89], v[167:168]
	ds_write_b128 v36, v[20:23] offset:1600
	v_fma_f64 v[18:19], v[72:73], s[4:5], v[64:65]
	v_fma_f64 v[20:21], v[74:75], s[6:7], v[66:67]
	;; [unrolled: 1-line block ×4, first 2 shown]
	v_add3_u32 v36, 0, v0, v1
	v_mul_u32_u24_e32 v44, 0x960, v41
	v_add_f64 v[42:43], v[114:115], v[165:166]
	v_add_f64 v[40:41], v[76:77], v[159:160]
	;; [unrolled: 1-line block ×4, first 2 shown]
	v_fma_f64 v[64:65], v[139:140], s[4:5], v[90:91]
	v_fma_f64 v[66:67], v[137:138], s[6:7], v[78:79]
	v_fma_f64 v[68:69], v[139:140], s[6:7], v[90:91]
	v_fma_f64 v[70:71], v[137:138], s[4:5], v[78:79]
	v_fma_f64 v[26:27], v[141:142], -0.5, v[84:85]
	v_fma_f64 v[72:73], v[143:144], -0.5, v[86:87]
	v_add_f64 v[76:77], v[173:174], -v[179:180]
	v_add_f64 v[78:79], v[171:172], -v[175:176]
	ds_write_b128 v36, v[2:5]
	ds_write_b128 v36, v[6:9] offset:800
	v_mul_u32_u24_e32 v2, 0x960, v52
	v_lshlrev_b32_sdwa v3, v60, v53 dst_sel:DWORD dst_unused:UNUSED_PAD src0_sel:DWORD src1_sel:WORD_0
	v_add_f64 v[8:9], v[123:124], v[127:128]
	v_add3_u32 v4, 0, v44, v37
	ds_write_b128 v36, v[10:13] offset:1600
	v_add_f64 v[10:11], v[181:182], v[131:132]
	v_add3_u32 v2, 0, v2, v3
	v_add_f64 v[12:13], v[135:136], v[149:150]
	ds_write_b128 v4, v[14:17]
	ds_write_b128 v4, v[18:21] offset:800
	ds_write_b128 v4, v[22:25] offset:1600
	v_add_f64 v[16:17], v[169:170], v[183:184]
	v_add_f64 v[18:19], v[129:130], v[133:134]
	;; [unrolled: 1-line block ×3, first 2 shown]
	ds_write_b128 v2, v[40:43]
	ds_write_b128 v2, v[64:67] offset:800
	ds_write_b128 v2, v[68:71] offset:1600
	v_add_f64 v[2:3], v[0:1], v[179:180]
	v_add_f64 v[0:1], v[74:75], v[175:176]
	;; [unrolled: 1-line block ×4, first 2 shown]
	v_fma_f64 v[4:5], v[76:77], s[4:5], v[26:27]
	v_fma_f64 v[6:7], v[78:79], s[6:7], v[72:73]
	v_lshlrev_b32_sdwa v70, v60, v45 dst_sel:DWORD dst_unused:UNUSED_PAD src0_sel:DWORD src1_sel:WORD_0
	v_add_f64 v[36:37], v[181:182], -v[131:132]
	v_add_f64 v[45:46], v[94:95], v[121:122]
	v_fma_f64 v[24:25], v[8:9], -0.5, v[80:81]
	v_add_f64 v[41:42], v[123:124], -v[127:128]
	v_add3_u32 v62, 0, v62, v70
	v_fma_f64 v[39:40], v[10:11], -0.5, v[82:83]
	v_add_f64 v[52:53], v[92:93], v[135:136]
	v_fma_f64 v[43:44], v[12:13], -0.5, v[92:93]
	v_add_f64 v[64:65], v[121:122], -v[125:126]
	v_fma_f64 v[8:9], v[76:77], s[6:7], v[26:27]
	v_fma_f64 v[10:11], v[78:79], s[4:5], v[72:73]
	v_fma_f64 v[74:75], v[16:17], -0.5, v[96:97]
	v_add_f64 v[76:77], v[129:130], -v[133:134]
	v_fma_f64 v[78:79], v[18:19], -0.5, v[98:99]
	v_add_f64 v[80:81], v[169:170], -v[183:184]
	;; [unrolled: 2-line block ×3, first 2 shown]
	v_add_f64 v[70:71], v[98:99], v[129:130]
	v_add_f64 v[72:73], v[96:97], v[169:170]
	ds_write_b128 v62, v[0:3]
	v_add_f64 v[2:3], v[20:21], v[131:132]
	v_add_f64 v[0:1], v[22:23], v[127:128]
	ds_write_b128 v62, v[4:7] offset:800
	v_add_f64 v[18:19], v[45:46], v[125:126]
	v_fma_f64 v[4:5], v[36:37], s[4:5], v[24:25]
	v_fma_f64 v[12:13], v[36:37], s[6:7], v[24:25]
	v_mul_u32_u24_e32 v36, 0x960, v38
	v_lshlrev_b32_sdwa v37, v60, v47 dst_sel:DWORD dst_unused:UNUSED_PAD src0_sel:DWORD src1_sel:WORD_0
	v_fma_f64 v[6:7], v[41:42], s[6:7], v[39:40]
	v_fma_f64 v[14:15], v[41:42], s[4:5], v[39:40]
	v_add_f64 v[16:17], v[52:53], v[149:150]
	v_fma_f64 v[20:21], v[64:65], s[4:5], v[43:44]
	v_add3_u32 v46, 0, v36, v37
	v_fma_f64 v[24:25], v[64:65], s[6:7], v[43:44]
	v_fma_f64 v[42:43], v[76:77], s[6:7], v[74:75]
	ds_write_b128 v62, v[8:11] offset:1600
	v_fma_f64 v[44:45], v[80:81], s[4:5], v[78:79]
	v_lshlrev_b32_e32 v36, 1, v100
	v_fma_f64 v[22:23], v[68:69], s[6:7], v[66:67]
	v_fma_f64 v[26:27], v[68:69], s[4:5], v[66:67]
	v_add_f64 v[40:41], v[70:71], v[133:134]
	v_add_f64 v[38:39], v[72:73], v[183:184]
	v_mov_b32_e32 v37, 0
	ds_write_b128 v46, v[0:3]
	v_mul_u32_u24_e32 v0, 0x960, v61
	v_lshlrev_b32_sdwa v1, v60, v63 dst_sel:DWORD dst_unused:UNUSED_PAD src0_sel:DWORD src1_sel:WORD_0
	v_fma_f64 v[8:9], v[76:77], s[4:5], v[74:75]
	v_fma_f64 v[10:11], v[80:81], s[6:7], v[78:79]
	v_mul_u32_u24_e32 v2, 0x960, v54
	v_lshlrev_b32_sdwa v3, v60, v55 dst_sel:DWORD dst_unused:UNUSED_PAD src0_sel:DWORD src1_sel:WORD_0
	v_add3_u32 v47, 0, v0, v1
	v_lshlrev_b64 v[0:1], 4, v[36:37]
	ds_write_b128 v46, v[4:7] offset:800
	ds_write_b128 v46, v[12:15] offset:1600
	v_add3_u32 v2, 0, v2, v3
	v_add_nc_u32_e32 v3, -15, v100
	ds_write_b128 v47, v[16:19]
	ds_write_b128 v47, v[20:23] offset:800
	ds_write_b128 v47, v[24:27] offset:1600
	ds_write_b128 v2, v[38:41]
	v_add_co_u32 v52, s0, s8, v0
	v_add_co_ci_u32_e64 v53, s0, s9, v1, s0
	v_cmp_gt_u32_e64 s0, 15, v100
	ds_write_b128 v2, v[42:45] offset:1600
	v_mov_b32_e32 v44, 0xda75
	ds_write_b128 v2, v[8:11] offset:800
	v_cndmask_b32_e64 v61, v3, v102, s0
	v_mov_b32_e32 v3, v37
	v_mul_u32_u24_sdwa v6, v34, v44 dst_sel:DWORD dst_unused:UNUSED_PAD src0_sel:WORD_0 src1_sel:DWORD
	v_add_co_u32 v0, s0, 0x800, v52
	v_lshlrev_b32_e32 v2, 1, v61
	v_add_co_ci_u32_e64 v1, s0, 0, v53, s0
	v_lshrrev_b32_e32 v54, 22, v6
	v_add_co_u32 v4, s0, 0x8c0, v52
	v_lshlrev_b64 v[2:3], 4, v[2:3]
	v_add_co_ci_u32_e64 v5, s0, 0, v53, s0
	v_mul_lo_u16 v8, 0x96, v54
	s_waitcnt lgkmcnt(0)
	s_barrier
	v_add_co_u32 v6, s0, s8, v2
	v_add_co_ci_u32_e64 v7, s0, s9, v3, s0
	v_sub_nc_u16 v55, v113, v8
	v_mul_u32_u24_sdwa v8, v35, v44 dst_sel:DWORD dst_unused:UNUSED_PAD src0_sel:WORD_0 src1_sel:DWORD
	v_add_co_u32 v2, s0, 0x800, v6
	v_add_co_ci_u32_e64 v3, s0, 0, v7, s0
	v_add_co_u32 v16, s0, 0x8c0, v6
	v_lshrrev_b32_e32 v62, 22, v8
	v_add_co_ci_u32_e64 v17, s0, 0, v7, s0
	v_lshlrev_b32_sdwa v18, v51, v55 dst_sel:DWORD dst_unused:UNUSED_PAD src0_sel:DWORD src1_sel:WORD_0
	buffer_gl0_inv
	s_clause 0x3
	global_load_dwordx4 v[12:15], v[0:1], off offset:192
	global_load_dwordx4 v[8:11], v[4:5], off offset:16
	;; [unrolled: 1-line block ×4, first 2 shown]
	v_mul_lo_u16 v16, 0x96, v62
	v_add_co_u32 v18, s0, s8, v18
	v_mul_u32_u24_sdwa v23, v33, v44 dst_sel:DWORD dst_unused:UNUSED_PAD src0_sel:WORD_0 src1_sel:DWORD
	v_add_co_ci_u32_e64 v19, null, s9, 0, s0
	v_sub_nc_u16 v63, v112, v16
	v_add_co_u32 v16, s0, 0x800, v18
	v_lshrrev_b32_e32 v67, 22, v23
	v_add_co_ci_u32_e64 v17, s0, 0, v19, s0
	v_lshlrev_b32_sdwa v22, v51, v63 dst_sel:DWORD dst_unused:UNUSED_PAD src0_sel:DWORD src1_sel:WORD_0
	v_add_co_u32 v20, s0, 0x8c0, v18
	v_add_co_ci_u32_e64 v21, s0, 0, v19, s0
	v_add_co_u32 v18, s0, s8, v22
	v_mul_lo_u16 v22, 0x96, v67
	v_add_co_ci_u32_e64 v19, null, s9, 0, s0
	v_add_co_u32 v24, s0, 0x800, v18
	v_sub_nc_u16 v69, v111, v22
	v_mul_u32_u24_sdwa v22, v32, v44 dst_sel:DWORD dst_unused:UNUSED_PAD src0_sel:WORD_0 src1_sel:DWORD
	v_add_co_ci_u32_e64 v25, s0, 0, v19, s0
	v_add_co_u32 v32, s0, 0x8c0, v18
	v_add_co_ci_u32_e64 v33, s0, 0, v19, s0
	v_lshrrev_b32_e32 v65, 22, v22
	s_clause 0x1
	global_load_dwordx4 v[16:19], v[16:17], off offset:192
	global_load_dwordx4 v[20:23], v[20:21], off offset:16
	v_lshlrev_b32_sdwa v38, v51, v69 dst_sel:DWORD dst_unused:UNUSED_PAD src0_sel:DWORD src1_sel:WORD_0
	v_mul_u32_u24_sdwa v31, v31, v44 dst_sel:DWORD dst_unused:UNUSED_PAD src0_sel:WORD_0 src1_sel:DWORD
	s_clause 0x1
	global_load_dwordx4 v[24:27], v[24:25], off offset:192
	global_load_dwordx4 v[32:35], v[32:33], off offset:16
	v_mul_lo_u16 v39, 0x96, v65
	v_mul_u32_u24_sdwa v28, v28, v44 dst_sel:DWORD dst_unused:UNUSED_PAD src0_sel:WORD_0 src1_sel:DWORD
	v_add_co_u32 v40, s0, s8, v38
	v_add_co_ci_u32_e64 v41, null, s9, 0, s0
	v_sub_nc_u16 v68, v110, v39
	v_add_co_u32 v38, s0, 0x800, v40
	v_add_co_ci_u32_e64 v39, s0, 0, v41, s0
	v_lshrrev_b32_e32 v64, 22, v31
	v_lshlrev_b32_sdwa v42, v51, v68 dst_sel:DWORD dst_unused:UNUSED_PAD src0_sel:DWORD src1_sel:WORD_0
	v_add_co_u32 v40, s0, 0x8c0, v40
	v_add_co_ci_u32_e64 v41, s0, 0, v41, s0
	v_mul_lo_u16 v46, 0x96, v64
	v_add_co_u32 v31, s0, s8, v42
	s_clause 0x1
	global_load_dwordx4 v[75:78], v[38:39], off offset:192
	global_load_dwordx4 v[79:82], v[40:41], off offset:16
	v_add_co_ci_u32_e64 v45, null, s9, 0, s0
	v_sub_nc_u16 v66, v109, v46
	v_mul_u32_u24_sdwa v46, v30, v44 dst_sel:DWORD dst_unused:UNUSED_PAD src0_sel:WORD_0 src1_sel:DWORD
	v_add_co_u32 v42, s0, 0x800, v31
	v_add_co_ci_u32_e64 v43, s0, 0, v45, s0
	v_add_co_u32 v30, s0, 0x8c0, v31
	v_lshrrev_b32_e32 v70, 22, v46
	v_add_co_ci_u32_e64 v31, s0, 0, v45, s0
	v_lshlrev_b32_sdwa v38, v51, v66 dst_sel:DWORD dst_unused:UNUSED_PAD src0_sel:DWORD src1_sel:WORD_0
	s_clause 0x1
	global_load_dwordx4 v[83:86], v[42:43], off offset:192
	global_load_dwordx4 v[87:90], v[30:31], off offset:16
	v_mul_lo_u16 v30, 0x96, v70
	v_lshrrev_b32_e32 v72, 22, v28
	v_add_co_u32 v38, s0, s8, v38
	v_add_co_ci_u32_e64 v39, null, s9, 0, s0
	v_sub_nc_u16 v71, v108, v30
	v_add_co_u32 v30, s0, 0x800, v38
	v_add_co_ci_u32_e64 v31, s0, 0, v39, s0
	v_lshlrev_b32_sdwa v40, v51, v71 dst_sel:DWORD dst_unused:UNUSED_PAD src0_sel:DWORD src1_sel:WORD_0
	v_add_co_u32 v38, s0, 0x8c0, v38
	v_add_co_ci_u32_e64 v39, s0, 0, v39, s0
	v_mul_lo_u16 v43, 0x96, v72
	v_add_co_u32 v28, s0, s8, v40
	v_add_co_ci_u32_e64 v42, null, s9, 0, s0
	v_sub_nc_u16 v73, v107, v43
	v_add_co_u32 v40, s0, 0x800, v28
	v_add_co_ci_u32_e64 v41, s0, 0, v42, s0
	global_load_dwordx4 v[91:94], v[30:31], off offset:192
	v_mul_u32_u24_sdwa v31, v29, v44 dst_sel:DWORD dst_unused:UNUSED_PAD src0_sel:WORD_0 src1_sel:DWORD
	v_lshlrev_b32_sdwa v30, v51, v73 dst_sel:DWORD dst_unused:UNUSED_PAD src0_sel:DWORD src1_sel:WORD_0
	s_clause 0x1
	global_load_dwordx4 v[95:98], v[38:39], off offset:16
	global_load_dwordx4 v[121:124], v[40:41], off offset:192
	v_add_co_u32 v28, s0, 0x8c0, v28
	v_add_co_ci_u32_e64 v29, s0, 0, v42, s0
	v_lshrrev_b32_e32 v31, 22, v31
	v_add_co_u32 v38, s0, s8, v30
	v_add_co_ci_u32_e64 v39, null, s9, 0, s0
	v_mul_lo_u16 v40, 0x96, v31
	v_add_co_u32 v30, s0, 0x800, v38
	v_add_co_ci_u32_e64 v31, s0, 0, v39, s0
	v_sub_nc_u16 v40, v106, v40
	s_clause 0x1
	global_load_dwordx4 v[125:128], v[28:29], off offset:16
	global_load_dwordx4 v[129:132], v[30:31], off offset:192
	v_add_co_u32 v28, s0, 0x8c0, v38
	v_and_b32_e32 v74, 0xffff, v40
	v_add_co_ci_u32_e64 v29, s0, 0, v39, s0
	v_lshlrev_b32_e32 v61, 4, v61
	v_mul_u32_u24_e32 v62, 0x1c20, v62
	v_lshlrev_b32_e32 v30, 5, v74
	global_load_dwordx4 v[133:136], v[28:29], off offset:16
	v_lshlrev_b32_sdwa v63, v60, v63 dst_sel:DWORD dst_unused:UNUSED_PAD src0_sel:DWORD src1_sel:WORD_0
	v_add_co_u32 v30, s0, s8, v30
	v_add_co_ci_u32_e64 v31, null, s9, 0, s0
	v_add3_u32 v63, 0, v62, v63
	v_add_co_u32 v28, s0, 0x800, v30
	v_add_co_ci_u32_e64 v29, s0, 0, v31, s0
	v_add_co_u32 v30, s0, 0x8c0, v30
	v_add_co_ci_u32_e64 v31, s0, 0, v31, s0
	s_clause 0x1
	global_load_dwordx4 v[137:140], v[28:29], off offset:192
	global_load_dwordx4 v[141:144], v[30:31], off offset:16
	ds_read_b128 v[28:31], v116 offset:21600
	ds_read_b128 v[38:41], v116 offset:43200
	;; [unrolled: 1-line block ×4, first 2 shown]
	ds_read_b128 v[149:152], v116
	ds_read_b128 v[153:156], v116 offset:25920
	ds_read_b128 v[161:164], v116 offset:28080
	;; [unrolled: 1-line block ×3, first 2 shown]
	v_cmp_lt_u32_e64 s0, 14, v100
	v_lshlrev_b32_sdwa v62, v60, v69 dst_sel:DWORD dst_unused:UNUSED_PAD src0_sel:DWORD src1_sel:WORD_0
	v_cndmask_b32_e64 v99, 0, 0x1c20, s0
	v_add3_u32 v61, 0, v99, v61
	v_lshlrev_b32_sdwa v99, v60, v55 dst_sel:DWORD dst_unused:UNUSED_PAD src0_sel:DWORD src1_sel:WORD_0
	s_waitcnt vmcnt(19) lgkmcnt(7)
	v_mul_f64 v[46:47], v[30:31], v[14:15]
	v_mul_f64 v[14:15], v[28:29], v[14:15]
	s_waitcnt vmcnt(18) lgkmcnt(6)
	v_mul_f64 v[114:115], v[40:41], v[10:11]
	v_mul_f64 v[165:166], v[38:39], v[10:11]
	;; [unrolled: 3-line block ×4, first 2 shown]
	v_fma_f64 v[173:174], v[28:29], v[12:13], v[46:47]
	v_fma_f64 v[175:176], v[30:31], v[12:13], -v[14:15]
	ds_read_b128 v[10:13], v116 offset:49680
	ds_read_b128 v[28:31], v116 offset:30240
	v_fma_f64 v[114:115], v[38:39], v[8:9], v[114:115]
	v_fma_f64 v[165:166], v[40:41], v[8:9], -v[165:166]
	ds_read_b128 v[6:9], v116 offset:51840
	v_fma_f64 v[167:168], v[42:43], v[4:5], v[167:168]
	v_fma_f64 v[169:170], v[44:45], v[4:5], -v[169:170]
	v_fma_f64 v[171:172], v[145:146], v[0:1], v[171:172]
	v_fma_f64 v[177:178], v[147:148], v[0:1], -v[2:3]
	ds_read_b128 v[145:148], v116 offset:32400
	s_waitcnt vmcnt(15) lgkmcnt(6)
	v_mul_f64 v[14:15], v[155:156], v[18:19]
	v_mul_f64 v[18:19], v[153:154], v[18:19]
	s_waitcnt vmcnt(14) lgkmcnt(4)
	v_mul_f64 v[38:39], v[159:160], v[22:23]
	v_mul_f64 v[22:23], v[157:158], v[22:23]
	s_waitcnt vmcnt(13)
	v_mul_f64 v[4:5], v[163:164], v[26:27]
	v_mul_f64 v[26:27], v[161:162], v[26:27]
	s_waitcnt vmcnt(12) lgkmcnt(3)
	v_mul_f64 v[0:1], v[12:13], v[34:35]
	v_mul_f64 v[2:3], v[10:11], v[34:35]
	v_fma_f64 v[153:154], v[153:154], v[16:17], v[14:15]
	v_fma_f64 v[155:156], v[155:156], v[16:17], -v[18:19]
	ds_read_b128 v[14:17], v116 offset:54000
	s_waitcnt vmcnt(11) lgkmcnt(3)
	v_mul_f64 v[34:35], v[30:31], v[77:78]
	v_mul_f64 v[77:78], v[28:29], v[77:78]
	v_fma_f64 v[42:43], v[157:158], v[20:21], v[38:39]
	s_waitcnt vmcnt(10) lgkmcnt(2)
	v_mul_f64 v[157:158], v[8:9], v[81:82]
	v_fma_f64 v[44:45], v[159:160], v[20:21], -v[22:23]
	ds_read_b128 v[18:21], v116 offset:34560
	v_fma_f64 v[159:160], v[161:162], v[24:25], v[4:5]
	v_fma_f64 v[161:162], v[163:164], v[24:25], -v[26:27]
	ds_read_b128 v[22:25], v116 offset:56160
	v_fma_f64 v[38:39], v[10:11], v[32:33], v[0:1]
	v_fma_f64 v[46:47], v[12:13], v[32:33], -v[2:3]
	v_mul_f64 v[81:82], v[6:7], v[81:82]
	ds_read_b128 v[0:3], v119
	s_waitcnt vmcnt(9) lgkmcnt(4)
	v_mul_f64 v[10:11], v[147:148], v[85:86]
	v_mul_f64 v[12:13], v[145:146], v[85:86]
	s_waitcnt vmcnt(8) lgkmcnt(3)
	v_mul_f64 v[26:27], v[16:17], v[89:90]
	v_fma_f64 v[40:41], v[28:29], v[75:76], v[34:35]
	v_fma_f64 v[163:164], v[30:31], v[75:76], -v[77:78]
	ds_read_b128 v[30:33], v116 offset:36720
	v_mul_f64 v[28:29], v[14:15], v[89:90]
	v_fma_f64 v[157:158], v[6:7], v[79:80], v[157:158]
	ds_read_b128 v[4:7], v116 offset:58320
	ds_read_b128 v[75:78], v116 offset:38880
	v_fma_f64 v[179:180], v[8:9], v[79:80], -v[81:82]
	ds_read_b128 v[79:82], v116 offset:41040
	v_fma_f64 v[181:182], v[145:146], v[83:84], v[10:11]
	v_fma_f64 v[183:184], v[147:148], v[83:84], -v[12:13]
	v_add_f64 v[147:148], v[169:170], -v[177:178]
	v_fma_f64 v[185:186], v[14:15], v[87:88], v[26:27]
	s_waitcnt vmcnt(7) lgkmcnt(6)
	v_mul_f64 v[34:35], v[20:21], v[93:94]
	v_mul_f64 v[85:86], v[18:19], v[93:94]
	s_waitcnt vmcnt(6) lgkmcnt(5)
	v_mul_f64 v[89:90], v[24:25], v[97:98]
	v_mul_f64 v[93:94], v[22:23], v[97:98]
	;; [unrolled: 3-line block ×3, first 2 shown]
	v_fma_f64 v[187:188], v[16:17], v[87:88], -v[28:29]
	ds_read_b128 v[14:17], v116 offset:60480
	s_waitcnt vmcnt(4) lgkmcnt(3)
	v_mul_f64 v[87:88], v[6:7], v[127:128]
	v_mul_f64 v[97:98], v[4:5], v[127:128]
	s_waitcnt vmcnt(3) lgkmcnt(2)
	v_mul_f64 v[123:124], v[77:78], v[131:132]
	v_fma_f64 v[8:9], v[18:19], v[91:92], v[34:35]
	v_fma_f64 v[18:19], v[20:21], v[91:92], -v[85:86]
	ds_read_b128 v[83:86], v116 offset:62640
	v_mul_f64 v[91:92], v[75:76], v[131:132]
	v_fma_f64 v[20:21], v[22:23], v[95:96], v[89:90]
	v_fma_f64 v[28:29], v[24:25], v[95:96], -v[93:94]
	v_add_f64 v[24:25], v[173:174], v[114:115]
	v_add_f64 v[89:90], v[175:176], v[165:166]
	v_fma_f64 v[26:27], v[32:33], v[121:122], -v[26:27]
	ds_read_b128 v[32:35], v59
	v_fma_f64 v[12:13], v[30:31], v[121:122], v[10:11]
	v_add_f64 v[10:11], v[167:168], v[171:172]
	v_add_f64 v[127:128], v[151:152], v[175:176]
	s_waitcnt vmcnt(2) lgkmcnt(2)
	v_mul_f64 v[93:94], v[16:17], v[135:136]
	v_add_f64 v[131:132], v[175:176], -v[165:166]
	v_fma_f64 v[4:5], v[4:5], v[125:126], v[87:88]
	v_add_f64 v[87:88], v[169:170], v[177:178]
	v_fma_f64 v[6:7], v[6:7], v[125:126], -v[97:98]
	v_fma_f64 v[22:23], v[75:76], v[129:130], v[123:124]
	v_fma_f64 v[30:31], v[77:78], v[129:130], -v[91:92]
	ds_read_b128 v[75:78], v58
	s_waitcnt vmcnt(1)
	v_mul_f64 v[95:96], v[81:82], v[139:140]
	v_mul_f64 v[97:98], v[79:80], v[139:140]
	v_add_f64 v[129:130], v[149:150], v[173:174]
	v_mul_f64 v[91:92], v[14:15], v[135:136]
	s_waitcnt vmcnt(0) lgkmcnt(2)
	v_mul_f64 v[121:122], v[85:86], v[143:144]
	v_mul_f64 v[123:124], v[83:84], v[143:144]
	v_fma_f64 v[125:126], v[24:25], -0.5, v[149:150]
	v_fma_f64 v[89:90], v[89:90], -0.5, v[151:152]
	v_add_f64 v[135:136], v[173:174], -v[114:115]
	s_waitcnt lgkmcnt(1)
	v_add_f64 v[143:144], v[34:35], v[169:170]
	v_add_f64 v[145:146], v[32:33], v[167:168]
	v_fma_f64 v[139:140], v[10:11], -0.5, v[32:33]
	v_add_f64 v[151:152], v[167:168], -v[171:172]
	v_fma_f64 v[14:15], v[14:15], v[133:134], v[93:94]
	v_add_f64 v[169:170], v[40:41], v[157:158]
	v_fma_f64 v[149:150], v[87:88], -0.5, v[34:35]
	s_waitcnt lgkmcnt(0)
	v_add_f64 v[167:168], v[77:78], v[155:156]
	v_fma_f64 v[32:33], v[79:80], v[137:138], v[95:96]
	v_fma_f64 v[34:35], v[81:82], v[137:138], -v[97:98]
	v_add_f64 v[81:82], v[127:128], v[165:166]
	v_add_f64 v[79:80], v[129:130], v[114:115]
	v_add_f64 v[114:115], v[153:154], v[42:43]
	v_add_f64 v[165:166], v[155:156], v[44:45]
	v_fma_f64 v[24:25], v[16:17], v[133:134], -v[91:92]
	v_fma_f64 v[10:11], v[83:84], v[141:142], v[121:122]
	v_fma_f64 v[16:17], v[85:86], v[141:142], -v[123:124]
	v_fma_f64 v[83:84], v[131:132], s[4:5], v[125:126]
	v_fma_f64 v[87:88], v[131:132], s[6:7], v[125:126]
	;; [unrolled: 1-line block ×4, first 2 shown]
	v_add_f64 v[93:94], v[143:144], v[177:178]
	v_add_f64 v[91:92], v[145:146], v[171:172]
	v_fma_f64 v[95:96], v[147:148], s[4:5], v[139:140]
	v_fma_f64 v[121:122], v[147:148], s[6:7], v[139:140]
	ds_read_b128 v[125:128], v120
	ds_read_b128 v[129:132], v57
	;; [unrolled: 1-line block ×6, first 2 shown]
	v_fma_f64 v[97:98], v[151:152], s[6:7], v[149:150]
	v_fma_f64 v[123:124], v[151:152], s[4:5], v[149:150]
	v_add_f64 v[149:150], v[159:160], v[38:39]
	v_add_f64 v[151:152], v[161:162], v[46:47]
	v_add_f64 v[155:156], v[155:156], -v[44:45]
	s_waitcnt lgkmcnt(0)
	s_barrier
	buffer_gl0_inv
	v_fma_f64 v[114:115], v[114:115], -0.5, v[75:76]
	v_add_f64 v[75:76], v[75:76], v[153:154]
	v_fma_f64 v[165:166], v[165:166], -0.5, v[77:78]
	v_add_f64 v[153:154], v[153:154], -v[42:43]
	ds_write_b128 v116, v[79:82]
	v_add_f64 v[44:45], v[167:168], v[44:45]
	ds_write_b128 v116, v[83:86] offset:2400
	v_add_f64 v[83:84], v[127:128], v[161:162]
	ds_write_b128 v116, v[87:90] offset:4800
	ds_write_b128 v61, v[91:94]
	v_add_f64 v[87:88], v[163:164], v[179:180]
	v_add_f64 v[91:92], v[125:126], v[159:160]
	ds_write_b128 v61, v[95:98] offset:2400
	v_add_f64 v[95:96], v[161:162], -v[46:47]
	v_fma_f64 v[89:90], v[149:150], -0.5, v[125:126]
	v_fma_f64 v[93:94], v[151:152], -0.5, v[127:128]
	v_add_f64 v[97:98], v[159:160], -v[38:39]
	v_add_f64 v[125:126], v[181:182], v[185:186]
	v_add_f64 v[127:128], v[183:184], v[187:188]
	ds_write_b128 v61, v[121:124] offset:4800
	v_fma_f64 v[79:80], v[155:156], s[6:7], v[114:115]
	v_add_f64 v[42:43], v[75:76], v[42:43]
	v_fma_f64 v[75:76], v[155:156], s[4:5], v[114:115]
	v_fma_f64 v[77:78], v[153:154], s[6:7], v[165:166]
	v_mul_u32_u24_e32 v61, 0x1c20, v54
	v_add_f64 v[54:55], v[131:132], v[163:164]
	v_add_f64 v[114:115], v[129:130], v[40:41]
	v_fma_f64 v[81:82], v[153:154], s[4:5], v[165:166]
	v_add_f64 v[85:86], v[83:84], v[46:47]
	v_fma_f64 v[46:47], v[169:170], -0.5, v[129:130]
	v_fma_f64 v[87:88], v[87:88], -0.5, v[131:132]
	v_add_f64 v[121:122], v[163:164], -v[179:180]
	v_add_f64 v[123:124], v[40:41], -v[157:158]
	v_add_f64 v[83:84], v[91:92], v[38:39]
	v_add3_u32 v61, 0, v61, v99
	v_add_f64 v[129:130], v[133:134], v[181:182]
	v_fma_f64 v[38:39], v[95:96], s[4:5], v[89:90]
	v_add_f64 v[131:132], v[183:184], -v[187:188]
	v_fma_f64 v[40:41], v[97:98], s[6:7], v[93:94]
	v_fma_f64 v[91:92], v[125:126], -0.5, v[133:134]
	v_fma_f64 v[125:126], v[127:128], -0.5, v[135:136]
	v_add_f64 v[127:128], v[135:136], v[183:184]
	v_add_f64 v[133:134], v[181:182], -v[185:186]
	ds_write_b128 v61, v[42:45]
	v_fma_f64 v[42:43], v[95:96], s[6:7], v[89:90]
	v_fma_f64 v[44:45], v[97:98], s[4:5], v[93:94]
	ds_write_b128 v61, v[75:78] offset:2400
	v_add_f64 v[77:78], v[54:55], v[179:180]
	v_add_f64 v[75:76], v[114:115], v[157:158]
	ds_write_b128 v61, v[79:82] offset:4800
	v_mul_u32_u24_e32 v61, 0x1c20, v67
	v_add_f64 v[54:55], v[18:19], v[28:29]
	v_add_f64 v[95:96], v[12:13], v[4:5]
	v_fma_f64 v[79:80], v[121:122], s[4:5], v[46:47]
	v_fma_f64 v[81:82], v[123:124], s[6:7], v[87:88]
	ds_write_b128 v63, v[83:86]
	v_fma_f64 v[83:84], v[121:122], s[6:7], v[46:47]
	v_fma_f64 v[85:86], v[123:124], s[4:5], v[87:88]
	v_add_f64 v[46:47], v[8:9], v[20:21]
	v_add3_u32 v69, 0, v61, v62
	ds_write_b128 v63, v[38:41] offset:2400
	v_add_f64 v[38:39], v[129:130], v[185:186]
	v_fma_f64 v[87:88], v[131:132], s[4:5], v[91:92]
	v_add_f64 v[40:41], v[127:128], v[187:188]
	v_fma_f64 v[89:90], v[133:134], s[6:7], v[125:126]
	v_add_f64 v[61:62], v[2:3], v[18:19]
	v_add_f64 v[97:98], v[26:27], v[6:7]
	ds_write_b128 v63, v[42:45] offset:4800
	v_add_f64 v[93:94], v[0:1], v[8:9]
	v_lshlrev_b32_sdwa v43, v60, v68 dst_sel:DWORD dst_unused:UNUSED_PAD src0_sel:DWORD src1_sel:WORD_0
	ds_write_b128 v69, v[75:78]
	v_add_f64 v[67:68], v[22:23], v[14:15]
	v_add_f64 v[75:76], v[30:31], v[24:25]
	;; [unrolled: 1-line block ×3, first 2 shown]
	v_mul_u32_u24_e32 v42, 0x1c20, v65
	v_add_f64 v[8:9], v[8:9], -v[20:21]
	ds_write_b128 v69, v[79:82] offset:2400
	v_add_f64 v[79:80], v[34:35], v[16:17]
	v_add_f64 v[81:82], v[139:140], v[26:27]
	ds_write_b128 v69, v[83:86] offset:4800
	v_add3_u32 v69, 0, v42, v43
	ds_write_b128 v69, v[38:41]
	ds_write_b128 v69, v[87:90] offset:2400
	v_fma_f64 v[38:39], v[46:47], -0.5, v[0:1]
	v_fma_f64 v[40:41], v[54:55], -0.5, v[2:3]
	v_add_f64 v[46:47], v[18:19], -v[28:29]
	v_add_f64 v[83:84], v[137:138], v[12:13]
	v_add_f64 v[2:3], v[61:62], v[28:29]
	v_fma_f64 v[54:55], v[95:96], -0.5, v[137:138]
	v_fma_f64 v[61:62], v[97:98], -0.5, v[139:140]
	v_add_f64 v[85:86], v[26:27], -v[6:7]
	v_add_f64 v[12:13], v[12:13], -v[4:5]
	v_add_f64 v[87:88], v[143:144], v[30:31]
	v_add_f64 v[89:90], v[141:142], v[22:23]
	v_fma_f64 v[42:43], v[131:132], s[6:7], v[91:92]
	v_add_f64 v[0:1], v[93:94], v[20:21]
	v_fma_f64 v[67:68], v[67:68], -0.5, v[141:142]
	v_fma_f64 v[75:76], v[75:76], -0.5, v[143:144]
	v_add_f64 v[91:92], v[30:31], -v[24:25]
	v_add_f64 v[93:94], v[22:23], -v[14:15]
	v_add_f64 v[95:96], v[147:148], v[34:35]
	v_add_f64 v[97:98], v[145:146], v[32:33]
	v_fma_f64 v[77:78], v[77:78], -0.5, v[145:146]
	v_fma_f64 v[79:80], v[79:80], -0.5, v[147:148]
	v_add_f64 v[34:35], v[34:35], -v[16:17]
	v_add_f64 v[114:115], v[32:33], -v[10:11]
	v_fma_f64 v[44:45], v[133:134], s[4:5], v[125:126]
	v_fma_f64 v[18:19], v[46:47], s[4:5], v[38:39]
	;; [unrolled: 1-line block ×5, first 2 shown]
	v_add_f64 v[6:7], v[81:82], v[6:7]
	v_add_f64 v[4:5], v[83:84], v[4:5]
	v_fma_f64 v[30:31], v[85:86], s[4:5], v[54:55]
	v_fma_f64 v[38:39], v[85:86], s[6:7], v[54:55]
	;; [unrolled: 1-line block ×4, first 2 shown]
	v_add_f64 v[24:25], v[87:88], v[24:25]
	v_add_f64 v[22:23], v[89:90], v[14:15]
	v_mul_u32_u24_e32 v46, 0x1c20, v64
	v_fma_f64 v[12:13], v[91:92], s[4:5], v[67:68]
	v_fma_f64 v[14:15], v[93:94], s[6:7], v[75:76]
	;; [unrolled: 1-line block ×4, first 2 shown]
	v_lshlrev_b32_sdwa v47, v60, v66 dst_sel:DWORD dst_unused:UNUSED_PAD src0_sel:DWORD src1_sel:WORD_0
	v_add_f64 v[67:68], v[95:96], v[16:17]
	v_add_f64 v[65:66], v[97:98], v[10:11]
	v_fma_f64 v[8:9], v[34:35], s[4:5], v[77:78]
	v_fma_f64 v[10:11], v[114:115], s[6:7], v[79:80]
	;; [unrolled: 1-line block ×3, first 2 shown]
	v_mul_u32_u24_e32 v17, 0x1c20, v70
	v_lshlrev_b32_sdwa v34, v60, v71 dst_sel:DWORD dst_unused:UNUSED_PAD src0_sel:DWORD src1_sel:WORD_0
	v_add3_u32 v16, 0, v46, v47
	ds_write_b128 v69, v[42:45] offset:4800
	v_mul_u32_u24_e32 v35, 0x1c20, v72
	v_lshlrev_b32_sdwa v42, v60, v73 dst_sel:DWORD dst_unused:UNUSED_PAD src0_sel:DWORD src1_sel:WORD_0
	v_add3_u32 v17, 0, v17, v34
	ds_write_b128 v16, v[0:3]
	ds_write_b128 v16, v[18:21] offset:2400
	ds_write_b128 v16, v[26:29] offset:4800
	ds_write_b128 v17, v[4:7]
	ds_write_b128 v17, v[30:33] offset:2400
	v_add3_u32 v0, 0, v35, v42
	v_lshl_add_u32 v4, v74, 4, 0
	ds_write_b128 v17, v[38:41] offset:4800
	ds_write_b128 v0, v[22:25]
	ds_write_b128 v0, v[12:15] offset:2400
	ds_write_b128 v0, v[61:64] offset:4800
	;; [unrolled: 1-line block ×4, first 2 shown]
	v_lshlrev_b32_e32 v0, 1, v102
	v_mov_b32_e32 v1, v37
	v_add_co_u32 v2, s0, 0x1800, v52
	v_add_co_ci_u32_e64 v3, s0, 0, v53, s0
	v_lshlrev_b64 v[0:1], 4, v[0:1]
	v_fma_f64 v[77:78], v[114:115], s[4:5], v[79:80]
	v_lshlrev_b32_e32 v10, 1, v113
	v_mov_b32_e32 v11, v37
	v_subrev_nc_u32_e32 v14, 45, v100
	v_mov_b32_e32 v81, 0x91a3
	v_add_co_u32 v38, s0, s8, v0
	v_add_co_ci_u32_e64 v39, s0, s9, v1, s0
	v_add_co_u32 v0, s0, 0x1b80, v52
	v_add_co_ci_u32_e64 v1, s0, 0, v53, s0
	;; [unrolled: 2-line block ×4, first 2 shown]
	v_cmp_gt_u32_e64 s0, 45, v100
	v_lshlrev_b64 v[10:11], 4, v[10:11]
	ds_write_b128 v4, v[75:78] offset:62400
	s_waitcnt lgkmcnt(0)
	s_barrier
	v_cndmask_b32_e64 v43, v14, v112, s0
	buffer_gl0_inv
	s_clause 0x3
	global_load_dwordx4 v[4:7], v[2:3], off offset:896
	global_load_dwordx4 v[0:3], v[0:1], off offset:16
	;; [unrolled: 1-line block ×4, first 2 shown]
	v_add_co_u32 v40, s0, s8, v10
	v_lshlrev_b32_e32 v8, 1, v43
	v_mov_b32_e32 v9, v37
	v_add_co_ci_u32_e64 v41, s0, s9, v11, s0
	v_add_co_u32 v10, s0, 0x1800, v40
	v_lshlrev_b64 v[8:9], 4, v[8:9]
	v_add_co_ci_u32_e64 v11, s0, 0, v41, s0
	v_add_co_u32 v12, s0, 0x1b80, v40
	v_add_co_ci_u32_e64 v13, s0, 0, v41, s0
	v_add_co_u32 v14, s0, s8, v8
	v_add_co_ci_u32_e64 v15, s0, s9, v9, s0
	v_add_nc_u32_e32 v8, 0xb4, v36
	v_mov_b32_e32 v9, v37
	s_clause 0x1
	global_load_dwordx4 v[32:35], v[10:11], off offset:896
	global_load_dwordx4 v[28:31], v[12:13], off offset:16
	v_add_co_u32 v10, s0, 0x1800, v14
	v_add_co_ci_u32_e64 v11, s0, 0, v15, s0
	v_lshlrev_b64 v[8:9], 4, v[8:9]
	v_add_co_u32 v12, s0, 0x1b80, v14
	v_add_nc_u32_e32 v36, 0x1c2, v36
	v_mul_u32_u24_sdwa v16, v109, v81 dst_sel:DWORD dst_unused:UNUSED_PAD src0_sel:WORD_0 src1_sel:DWORD
	v_add_co_ci_u32_e64 v13, s0, 0, v15, s0
	v_add_co_u32 v14, s0, s8, v8
	v_add_co_ci_u32_e64 v15, s0, s9, v9, s0
	v_lshlrev_b64 v[46:47], 4, v[36:37]
	v_lshrrev_b32_e32 v36, 24, v16
	v_add_co_u32 v8, s0, 0x1800, v14
	v_add_co_ci_u32_e64 v9, s0, 0, v15, s0
	v_add_co_u32 v44, s0, 0x1b80, v14
	v_mul_lo_u16 v42, 0x1c2, v36
	v_add_co_ci_u32_e64 v45, s0, 0, v15, s0
	v_mul_u32_u24_sdwa v54, v108, v81 dst_sel:DWORD dst_unused:UNUSED_PAD src0_sel:WORD_0 src1_sel:DWORD
	s_clause 0x3
	global_load_dwordx4 v[61:64], v[10:11], off offset:896
	global_load_dwordx4 v[16:19], v[12:13], off offset:16
	;; [unrolled: 1-line block ×4, first 2 shown]
	v_add_co_u32 v44, s0, s8, v46
	v_sub_nc_u16 v42, v109, v42
	v_add_co_ci_u32_e64 v47, s0, s9, v47, s0
	v_lshrrev_b32_e32 v65, 24, v54
	v_add_co_u32 v45, s0, 0x1800, v44
	v_lshlrev_b32_sdwa v51, v51, v42 dst_sel:DWORD dst_unused:UNUSED_PAD src0_sel:DWORD src1_sel:WORD_0
	v_add_co_ci_u32_e64 v46, s0, 0, v47, s0
	v_add_co_u32 v54, s0, 0x1b80, v44
	v_mul_lo_u16 v44, 0x1c2, v65
	v_mul_u32_u24_sdwa v65, v107, v81 dst_sel:DWORD dst_unused:UNUSED_PAD src0_sel:WORD_0 src1_sel:DWORD
	v_add_co_ci_u32_e64 v55, s0, 0, v47, s0
	v_add_co_u32 v47, s0, s8, v51
	v_add_co_ci_u32_e64 v51, null, s9, 0, s0
	v_sub_nc_u16 v44, v108, v44
	v_lshrrev_b32_e32 v65, 24, v65
	v_add_co_u32 v73, s0, 0x1800, v47
	v_add_co_ci_u32_e64 v74, s0, 0, v51, s0
	v_and_b32_e32 v44, 0xffff, v44
	v_add_co_u32 v77, s0, 0x1b80, v47
	v_mul_lo_u16 v47, 0x1c2, v65
	s_clause 0x1
	global_load_dwordx4 v[65:68], v[45:46], off offset:896
	global_load_dwordx4 v[69:72], v[54:55], off offset:16
	v_lshlrev_b32_e32 v45, 5, v44
	v_add_co_ci_u32_e64 v78, s0, 0, v51, s0
	v_sub_nc_u16 v46, v107, v47
	v_mul_u32_u24_sdwa v47, v106, v81 dst_sel:DWORD dst_unused:UNUSED_PAD src0_sel:WORD_0 src1_sel:DWORD
	v_add_co_u32 v45, s0, s8, v45
	v_add_co_ci_u32_e64 v51, null, s9, 0, s0
	v_and_b32_e32 v46, 0xffff, v46
	v_lshrrev_b32_e32 v47, 24, v47
	v_add_co_u32 v54, s0, 0x1800, v45
	v_add_co_ci_u32_e64 v55, s0, 0, v51, s0
	v_lshlrev_b32_e32 v81, 5, v46
	v_mul_lo_u16 v47, 0x1c2, v47
	v_add_co_u32 v85, s0, 0x1b80, v45
	v_add_co_ci_u32_e64 v86, s0, 0, v51, s0
	v_sub_nc_u16 v45, v106, v47
	v_add_co_u32 v47, s0, s8, v81
	v_add_co_ci_u32_e64 v51, null, s9, 0, s0
	s_clause 0x1
	global_load_dwordx4 v[73:76], v[73:74], off offset:896
	global_load_dwordx4 v[77:80], v[77:78], off offset:16
	v_add_co_u32 v89, s0, 0x1800, v47
	v_add_co_ci_u32_e64 v90, s0, 0, v51, s0
	s_clause 0x2
	global_load_dwordx4 v[81:84], v[54:55], off offset:896
	global_load_dwordx4 v[85:88], v[85:86], off offset:16
	;; [unrolled: 1-line block ×3, first 2 shown]
	v_and_b32_e32 v45, 0xffff, v45
	v_lshlrev_b32_sdwa v42, v60, v42 dst_sel:DWORD dst_unused:UNUSED_PAD src0_sel:DWORD src1_sel:WORD_0
	v_mul_u32_u24_e32 v36, 0x5460, v36
	v_lshlrev_b32_e32 v93, 5, v45
	v_add_co_u32 v99, s0, s8, v93
	v_add_co_ci_u32_e64 v103, null, s9, 0, s0
	v_add_co_u32 v54, s0, 0x1b80, v47
	v_add_co_ci_u32_e64 v55, s0, 0, v51, s0
	v_add_co_u32 v97, s0, 0x1800, v99
	v_add_co_ci_u32_e64 v98, s0, 0, v103, s0
	global_load_dwordx4 v[93:96], v[54:55], off offset:16
	v_add_co_u32 v54, s0, 0x1b80, v99
	v_add_co_ci_u32_e64 v55, s0, 0, v103, s0
	s_clause 0x1
	global_load_dwordx4 v[121:124], v[97:98], off offset:896
	global_load_dwordx4 v[125:128], v[54:55], off offset:16
	ds_read_b128 v[129:132], v116 offset:21600
	ds_read_b128 v[133:136], v116 offset:43200
	;; [unrolled: 1-line block ×3, first 2 shown]
	ds_read_b128 v[141:144], v116
	ds_read_b128 v[145:148], v116 offset:45360
	ds_read_b128 v[149:152], v116 offset:25920
	;; [unrolled: 1-line block ×5, first 2 shown]
	v_cmp_lt_u32_e64 s0, 44, v100
	s_waitcnt vmcnt(19) lgkmcnt(8)
	v_mul_f64 v[54:55], v[131:132], v[6:7]
	v_mul_f64 v[6:7], v[129:130], v[6:7]
	s_waitcnt vmcnt(18) lgkmcnt(7)
	v_mul_f64 v[97:98], v[135:136], v[2:3]
	v_mul_f64 v[2:3], v[133:134], v[2:3]
	;; [unrolled: 3-line block ×4, first 2 shown]
	v_fma_f64 v[54:55], v[129:130], v[4:5], v[54:55]
	s_waitcnt vmcnt(15) lgkmcnt(3)
	v_mul_f64 v[169:170], v[151:152], v[34:35]
	v_mul_f64 v[34:35], v[149:150], v[34:35]
	v_fma_f64 v[173:174], v[131:132], v[4:5], -v[6:7]
	ds_read_b128 v[129:132], v116 offset:51840
	v_fma_f64 v[97:98], v[133:134], v[0:1], v[97:98]
	v_fma_f64 v[177:178], v[135:136], v[0:1], -v[2:3]
	v_fma_f64 v[114:115], v[137:138], v[24:25], v[114:115]
	v_fma_f64 v[137:138], v[139:140], v[24:25], -v[26:27]
	ds_read_b128 v[22:25], v116 offset:54000
	v_fma_f64 v[139:140], v[145:146], v[20:21], v[165:166]
	v_fma_f64 v[145:146], v[147:148], v[20:21], -v[167:168]
	ds_read_b128 v[4:7], v116 offset:30240
	ds_read_b128 v[133:136], v116 offset:32400
	v_fma_f64 v[147:148], v[149:150], v[32:33], v[169:170]
	v_fma_f64 v[34:35], v[151:152], v[32:33], -v[34:35]
	s_waitcnt vmcnt(13) lgkmcnt(5)
	v_mul_f64 v[175:176], v[159:160], v[63:64]
	v_mul_f64 v[0:1], v[157:158], v[63:64]
	s_waitcnt vmcnt(12) lgkmcnt(4)
	v_mul_f64 v[63:64], v[163:164], v[18:19]
	v_mul_f64 v[149:150], v[161:162], v[18:19]
	ds_read_b128 v[18:21], v116 offset:34560
	v_mul_f64 v[171:172], v[155:156], v[30:31]
	v_mul_f64 v[30:31], v[153:154], v[30:31]
	s_waitcnt vmcnt(11) lgkmcnt(2)
	v_mul_f64 v[165:166], v[4:5], v[14:15]
	s_waitcnt vmcnt(10)
	v_mul_f64 v[167:168], v[131:132], v[10:11]
	v_mul_f64 v[10:11], v[129:130], v[10:11]
	v_fma_f64 v[157:158], v[157:158], v[61:62], v[175:176]
	v_fma_f64 v[159:160], v[159:160], v[61:62], -v[0:1]
	v_fma_f64 v[161:162], v[161:162], v[16:17], v[63:64]
	v_fma_f64 v[149:150], v[163:164], v[16:17], -v[149:150]
	v_fma_f64 v[151:152], v[153:154], v[28:29], v[171:172]
	v_mul_f64 v[153:154], v[6:7], v[14:15]
	v_fma_f64 v[155:156], v[155:156], v[28:29], -v[30:31]
	ds_read_b128 v[26:29], v116 offset:56160
	ds_read_b128 v[0:3], v119
	ds_read_b128 v[14:17], v116 offset:58320
	v_fma_f64 v[163:164], v[6:7], v[12:13], -v[165:166]
	v_fma_f64 v[129:130], v[129:130], v[8:9], v[167:168]
	s_waitcnt vmcnt(9) lgkmcnt(4)
	v_mul_f64 v[169:170], v[135:136], v[67:68]
	s_waitcnt vmcnt(8)
	v_mul_f64 v[171:172], v[24:25], v[71:72]
	v_mul_f64 v[71:72], v[22:23], v[71:72]
	;; [unrolled: 1-line block ×3, first 2 shown]
	ds_read_b128 v[30:33], v116 offset:36720
	ds_read_b128 v[61:64], v116 offset:38880
	v_fma_f64 v[131:132], v[131:132], v[8:9], -v[10:11]
	ds_read_b128 v[8:11], v116 offset:41040
	v_fma_f64 v[153:154], v[4:5], v[12:13], v[153:154]
	ds_read_b128 v[4:7], v116 offset:60480
	v_fma_f64 v[133:134], v[133:134], v[65:66], v[169:170]
	v_fma_f64 v[167:168], v[22:23], v[69:70], v[171:172]
	v_fma_f64 v[169:170], v[24:25], v[69:70], -v[71:72]
	v_fma_f64 v[135:136], v[135:136], v[65:66], -v[67:68]
	ds_read_b128 v[22:25], v116 offset:62640
	s_waitcnt vmcnt(7) lgkmcnt(8)
	v_mul_f64 v[12:13], v[20:21], v[75:76]
	v_mul_f64 v[75:76], v[18:19], v[75:76]
	s_waitcnt vmcnt(6) lgkmcnt(7)
	v_mul_f64 v[165:166], v[28:29], v[79:80]
	v_mul_f64 v[79:80], v[26:27], v[79:80]
	;; [unrolled: 3-line block ×3, first 2 shown]
	v_add_f64 v[87:88], v[159:160], -v[149:150]
	v_fma_f64 v[171:172], v[18:19], v[73:74], v[12:13]
	v_fma_f64 v[175:176], v[20:21], v[73:74], -v[75:76]
	v_fma_f64 v[165:166], v[26:27], v[77:78], v[165:166]
	s_waitcnt vmcnt(3) lgkmcnt(3)
	v_mul_f64 v[18:19], v[61:62], v[91:92]
	v_fma_f64 v[179:180], v[28:29], v[77:78], -v[79:80]
	v_add_f64 v[77:78], v[54:55], v[97:98]
	v_fma_f64 v[185:186], v[14:15], v[85:86], v[69:70]
	ds_read_b128 v[12:15], v59
	v_mul_f64 v[65:66], v[32:33], v[83:84]
	s_waitcnt vmcnt(2) lgkmcnt(2)
	v_mul_f64 v[20:21], v[6:7], v[95:96]
	v_mul_f64 v[26:27], v[4:5], v[95:96]
	;; [unrolled: 1-line block ×4, first 2 shown]
	v_fma_f64 v[187:188], v[16:17], v[85:86], -v[71:72]
	s_waitcnt vmcnt(1)
	v_mul_f64 v[28:29], v[10:11], v[123:124]
	v_mul_f64 v[73:74], v[8:9], v[123:124]
	v_add_f64 v[71:72], v[159:160], v[149:150]
	v_add_f64 v[69:70], v[173:174], -v[177:178]
	v_add_f64 v[91:92], v[157:158], -v[161:162]
	v_fma_f64 v[181:182], v[30:31], v[81:82], v[65:66]
	v_add_f64 v[30:31], v[173:174], v[177:178]
	v_fma_f64 v[191:192], v[4:5], v[93:94], v[20:21]
	v_fma_f64 v[193:194], v[6:7], v[93:94], -v[26:27]
	ds_read_b128 v[4:7], v120
	s_waitcnt vmcnt(0) lgkmcnt(2)
	v_mul_f64 v[75:76], v[24:25], v[127:128]
	v_fma_f64 v[183:184], v[32:33], v[81:82], -v[67:68]
	v_mul_f64 v[32:33], v[22:23], v[127:128]
	v_add_f64 v[65:66], v[114:115], v[139:140]
	v_fma_f64 v[189:190], v[61:62], v[89:90], v[83:84]
	v_add_f64 v[61:62], v[143:144], v[173:174]
	v_add_f64 v[67:68], v[137:138], v[145:146]
	v_fma_f64 v[127:128], v[63:64], v[89:90], -v[18:19]
	v_add_f64 v[20:21], v[147:148], v[151:152]
	v_add_f64 v[63:64], v[34:35], v[155:156]
	v_fma_f64 v[195:196], v[8:9], v[121:122], v[28:29]
	v_add_f64 v[26:27], v[157:158], v[161:162]
	v_add_f64 v[28:29], v[141:142], v[54:55]
	ds_read_b128 v[16:19], v58
	v_add_f64 v[54:55], v[54:55], -v[97:98]
	v_fma_f64 v[197:198], v[10:11], v[121:122], -v[73:74]
	v_add_f64 v[81:82], v[147:148], -v[151:152]
	v_fma_f64 v[30:31], v[30:31], -0.5, v[143:144]
	s_waitcnt lgkmcnt(1)
	v_add_f64 v[85:86], v[6:7], v[159:160]
	v_fma_f64 v[89:90], v[71:72], -0.5, v[6:7]
	v_fma_f64 v[199:200], v[22:23], v[125:126], v[75:76]
	v_fma_f64 v[22:23], v[77:78], -0.5, v[141:142]
	v_fma_f64 v[125:126], v[24:25], v[125:126], -v[32:33]
	v_fma_f64 v[32:33], v[65:66], -0.5, v[12:13]
	v_add_f64 v[24:25], v[14:15], v[137:138]
	v_add_f64 v[65:66], v[12:13], v[114:115]
	ds_read_b128 v[10:13], v57
	v_add_f64 v[8:9], v[61:62], v[177:178]
	v_fma_f64 v[61:62], v[67:68], -0.5, v[14:15]
	v_add_f64 v[67:68], v[137:138], -v[145:146]
	v_add_f64 v[75:76], v[114:115], -v[139:140]
	s_waitcnt lgkmcnt(1)
	v_fma_f64 v[73:74], v[20:21], -0.5, v[16:17]
	v_fma_f64 v[77:78], v[63:64], -0.5, v[18:19]
	v_add_f64 v[63:64], v[18:19], v[34:35]
	v_add_f64 v[79:80], v[16:17], v[147:148]
	v_add_f64 v[34:35], v[34:35], -v[155:156]
	v_fma_f64 v[83:84], v[26:27], -0.5, v[4:5]
	v_add_f64 v[4:5], v[4:5], v[157:158]
	v_add_f64 v[6:7], v[28:29], v[97:98]
	v_fma_f64 v[16:17], v[54:55], s[6:7], v[30:31]
	v_fma_f64 v[20:21], v[54:55], s[4:5], v[30:31]
	v_add_f64 v[54:55], v[175:176], v[179:180]
	v_fma_f64 v[14:15], v[69:70], s[4:5], v[22:23]
	v_fma_f64 v[18:19], v[69:70], s[6:7], v[22:23]
	v_add_f64 v[24:25], v[24:25], v[145:146]
	v_add_f64 v[22:23], v[65:66], v[139:140]
	v_fma_f64 v[26:27], v[67:68], s[4:5], v[32:33]
	v_fma_f64 v[28:29], v[75:76], s[6:7], v[61:62]
	v_fma_f64 v[30:31], v[67:68], s[6:7], v[32:33]
	v_fma_f64 v[32:33], v[75:76], s[4:5], v[61:62]
	v_add_f64 v[63:64], v[63:64], v[155:156]
	v_add_f64 v[61:62], v[79:80], v[151:152]
	v_fma_f64 v[65:66], v[34:35], s[4:5], v[73:74]
	v_fma_f64 v[69:70], v[34:35], s[6:7], v[73:74]
	;; [unrolled: 6-line block ×3, first 2 shown]
	v_fma_f64 v[79:80], v[91:92], s[6:7], v[89:90]
	v_fma_f64 v[83:84], v[91:92], s[4:5], v[89:90]
	ds_read_b128 v[85:88], v56
	ds_read_b128 v[89:92], v50
	v_add_f64 v[4:5], v[153:154], v[129:130]
	ds_read_b128 v[93:96], v49
	ds_read_b128 v[121:124], v48
	s_waitcnt lgkmcnt(0)
	v_add_f64 v[34:35], v[163:164], v[131:132]
	s_barrier
	buffer_gl0_inv
	ds_write_b128 v116, v[6:9]
	v_add_f64 v[8:9], v[135:136], v[169:170]
	ds_write_b128 v116, v[14:17] offset:7200
	ds_write_b128 v116, v[18:21] offset:14400
	ds_write_b128 v59, v[22:25]
	ds_write_b128 v59, v[26:29] offset:7200
	v_lshlrev_b32_e32 v18, 4, v43
	v_cndmask_b32_e64 v19, 0, 0x5460, s0
	ds_write_b128 v59, v[30:33] offset:14400
	v_add_f64 v[16:17], v[171:172], v[165:166]
	v_add_f64 v[6:7], v[133:134], v[167:168]
	;; [unrolled: 1-line block ×3, first 2 shown]
	v_add3_u32 v32, 0, v19, v18
	ds_write_b128 v58, v[61:64]
	ds_write_b128 v58, v[65:68] offset:7200
	v_add_f64 v[22:23], v[153:154], -v[129:130]
	ds_write_b128 v58, v[69:72] offset:14400
	ds_write_b128 v32, v[73:76]
	v_add_f64 v[26:27], v[87:88], v[135:136]
	ds_write_b128 v32, v[77:80] offset:7200
	ds_write_b128 v32, v[81:84] offset:14400
	v_fma_f64 v[18:19], v[4:5], -0.5, v[10:11]
	v_add_f64 v[4:5], v[10:11], v[153:154]
	v_add_f64 v[10:11], v[163:164], -v[131:132]
	v_fma_f64 v[20:21], v[34:35], -0.5, v[12:13]
	v_add_f64 v[34:35], v[133:134], -v[167:168]
	v_add_f64 v[61:62], v[2:3], v[175:176]
	v_add_f64 v[67:68], v[181:182], v[185:186]
	v_fma_f64 v[32:33], v[8:9], -0.5, v[87:88]
	v_add_f64 v[69:70], v[183:184], v[187:188]
	v_add_f64 v[71:72], v[189:190], v[191:192]
	;; [unrolled: 1-line block ×6, first 2 shown]
	v_fma_f64 v[63:64], v[16:17], -0.5, v[0:1]
	v_add_f64 v[0:1], v[0:1], v[171:172]
	v_fma_f64 v[24:25], v[6:7], -0.5, v[85:86]
	v_add_f64 v[30:31], v[135:136], -v[169:170]
	v_add_f64 v[6:7], v[14:15], v[131:132]
	v_add_f64 v[65:66], v[175:176], -v[179:180]
	v_add_f64 v[79:80], v[89:90], v[181:182]
	v_add_f64 v[81:82], v[183:184], -v[187:188]
	v_add_f64 v[83:84], v[181:182], -v[185:186]
	v_add_f64 v[4:5], v[4:5], v[129:130]
	v_fma_f64 v[8:9], v[10:11], s[4:5], v[18:19]
	v_fma_f64 v[12:13], v[10:11], s[6:7], v[18:19]
	;; [unrolled: 1-line block ×4, first 2 shown]
	v_add_f64 v[18:19], v[26:27], v[169:170]
	v_fma_f64 v[22:23], v[34:35], s[6:7], v[32:33]
	v_fma_f64 v[26:27], v[34:35], s[4:5], v[32:33]
	v_fma_f64 v[34:35], v[54:55], -0.5, v[2:3]
	v_add_f64 v[54:55], v[171:172], -v[165:166]
	v_add_f64 v[2:3], v[61:62], v[179:180]
	v_fma_f64 v[67:68], v[67:68], -0.5, v[89:90]
	v_fma_f64 v[69:70], v[69:70], -0.5, v[91:92]
	v_add_f64 v[61:62], v[91:92], v[183:184]
	v_fma_f64 v[85:86], v[71:72], -0.5, v[93:94]
	v_fma_f64 v[87:88], v[73:74], -0.5, v[95:96]
	v_add_f64 v[71:72], v[95:96], v[127:128]
	v_add_f64 v[73:74], v[93:94], v[189:190]
	v_add_f64 v[89:90], v[127:128], -v[193:194]
	v_add_f64 v[91:92], v[189:190], -v[191:192]
	v_add_f64 v[97:98], v[121:122], v[195:196]
	v_add_f64 v[114:115], v[123:124], v[197:198]
	v_fma_f64 v[93:94], v[75:76], -0.5, v[121:122]
	v_fma_f64 v[95:96], v[77:78], -0.5, v[123:124]
	v_add_f64 v[121:122], v[197:198], -v[125:126]
	v_add_f64 v[123:124], v[195:196], -v[199:200]
	v_add_f64 v[16:17], v[28:29], v[167:168]
	v_add_f64 v[0:1], v[0:1], v[165:166]
	v_fma_f64 v[20:21], v[30:31], s[4:5], v[24:25]
	v_fma_f64 v[24:25], v[30:31], s[6:7], v[24:25]
	;; [unrolled: 1-line block ×6, first 2 shown]
	ds_write_b128 v116, v[4:7] offset:23040
	v_add_f64 v[6:7], v[61:62], v[187:188]
	v_add_f64 v[4:5], v[79:80], v[185:186]
	v_fma_f64 v[60:61], v[81:82], s[4:5], v[67:68]
	v_fma_f64 v[64:65], v[81:82], s[6:7], v[67:68]
	;; [unrolled: 1-line block ×4, first 2 shown]
	v_add_f64 v[70:71], v[71:72], v[193:194]
	v_add_f64 v[68:69], v[73:74], v[191:192]
	v_fma_f64 v[72:73], v[89:90], s[4:5], v[85:86]
	v_fma_f64 v[74:75], v[91:92], s[6:7], v[87:88]
	;; [unrolled: 1-line block ×4, first 2 shown]
	v_add_f64 v[80:81], v[97:98], v[199:200]
	v_add_f64 v[82:83], v[114:115], v[125:126]
	v_fma_f64 v[84:85], v[121:122], s[4:5], v[93:94]
	v_fma_f64 v[86:87], v[123:124], s[6:7], v[95:96]
	ds_write_b128 v116, v[8:11] offset:30240
	ds_write_b128 v116, v[12:15] offset:37440
	v_fma_f64 v[8:9], v[121:122], s[6:7], v[93:94]
	v_fma_f64 v[10:11], v[123:124], s[4:5], v[95:96]
	v_add3_u32 v12, 0, v36, v42
	v_lshl_add_u32 v13, v44, 4, 0
	ds_write_b128 v116, v[16:19] offset:25200
	ds_write_b128 v116, v[20:23] offset:32400
	;; [unrolled: 1-line block ×3, first 2 shown]
	ds_write_b128 v12, v[0:3]
	ds_write_b128 v12, v[28:31] offset:7200
	ds_write_b128 v12, v[32:35] offset:14400
	v_lshl_add_u32 v0, v46, 4, 0
	v_lshl_add_u32 v2, v45, 4, 0
	ds_write_b128 v13, v[4:7] offset:43200
	ds_write_b128 v13, v[60:63] offset:50400
	;; [unrolled: 1-line block ×8, first 2 shown]
	v_add_co_u32 v0, s0, 0x5000, v52
	v_add_co_ci_u32_e64 v1, s0, 0, v53, s0
	v_add_co_u32 v4, s0, 0x53c0, v52
	v_lshlrev_b32_e32 v36, 1, v112
	v_add_co_ci_u32_e64 v5, s0, 0, v53, s0
	ds_write_b128 v2, v[8:11] offset:57600
	v_add_co_u32 v8, s0, 0x5000, v38
	v_add_co_ci_u32_e64 v9, s0, 0, v39, s0
	v_add_co_u32 v10, s0, 0x53c0, v38
	v_lshlrev_b64 v[12:13], 4, v[36:37]
	v_add_co_ci_u32_e64 v11, s0, 0, v39, s0
	v_add_co_u32 v14, s0, 0x5000, v40
	v_add_co_ci_u32_e64 v15, s0, 0, v41, s0
	s_waitcnt lgkmcnt(0)
	s_barrier
	buffer_gl0_inv
	s_clause 0x3
	global_load_dwordx4 v[0:3], v[0:1], off offset:960
	global_load_dwordx4 v[4:7], v[4:5], off offset:16
	;; [unrolled: 1-line block ×4, first 2 shown]
	v_add_co_u32 v12, s0, s8, v12
	v_add_co_ci_u32_e64 v13, s0, s9, v13, s0
	v_lshlrev_b32_e32 v36, 1, v111
	v_add_co_u32 v8, s0, 0x53c0, v40
	v_add_co_ci_u32_e64 v9, s0, 0, v41, s0
	v_add_co_u32 v10, s0, 0x5000, v12
	v_lshlrev_b64 v[16:17], 4, v[36:37]
	v_add_co_ci_u32_e64 v11, s0, 0, v13, s0
	v_add_co_u32 v12, s0, 0x53c0, v12
	v_add_co_ci_u32_e64 v13, s0, 0, v13, s0
	s_clause 0x3
	global_load_dwordx4 v[38:41], v[14:15], off offset:960
	global_load_dwordx4 v[51:54], v[8:9], off offset:16
	;; [unrolled: 1-line block ×4, first 2 shown]
	v_add_co_u32 v12, s0, s8, v16
	v_lshlrev_b32_e32 v36, 1, v110
	v_add_co_ci_u32_e64 v13, s0, s9, v17, s0
	v_add_co_u32 v8, s0, 0x5000, v12
	v_lshlrev_b64 v[10:11], 4, v[36:37]
	v_add_co_ci_u32_e64 v9, s0, 0, v13, s0
	v_add_co_u32 v12, s0, 0x53c0, v12
	v_lshlrev_b32_e32 v36, 1, v109
	v_add_co_ci_u32_e64 v13, s0, 0, v13, s0
	v_add_co_u32 v14, s0, s8, v10
	v_add_co_ci_u32_e64 v15, s0, s9, v11, s0
	s_clause 0x1
	global_load_dwordx4 v[60:63], v[8:9], off offset:960
	global_load_dwordx4 v[64:67], v[12:13], off offset:16
	v_lshlrev_b64 v[8:9], 4, v[36:37]
	v_add_co_u32 v10, s0, 0x5000, v14
	v_add_co_ci_u32_e64 v11, s0, 0, v15, s0
	v_lshlrev_b32_e32 v36, 1, v108
	v_add_co_u32 v16, s0, s8, v8
	v_add_co_ci_u32_e64 v17, s0, s9, v9, s0
	v_add_co_u32 v8, s0, 0x53c0, v14
	v_add_co_ci_u32_e64 v9, s0, 0, v15, s0
	;; [unrolled: 2-line block ×4, first 2 shown]
	v_lshlrev_b64 v[16:17], 4, v[36:37]
	s_clause 0x3
	global_load_dwordx4 v[68:71], v[10:11], off offset:960
	global_load_dwordx4 v[72:75], v[8:9], off offset:16
	;; [unrolled: 1-line block ×4, first 2 shown]
	v_lshlrev_b32_e32 v36, 1, v107
	v_add_co_u32 v10, s0, s8, v16
	v_add_co_ci_u32_e64 v11, s0, s9, v17, s0
	v_lshlrev_b64 v[12:13], 4, v[36:37]
	v_add_co_u32 v8, s0, 0x5000, v10
	v_add_co_ci_u32_e64 v9, s0, 0, v11, s0
	v_add_co_u32 v10, s0, 0x53c0, v10
	v_add_co_ci_u32_e64 v11, s0, 0, v11, s0
	v_add_co_u32 v14, s0, s8, v12
	v_lshlrev_b32_e32 v36, 1, v106
	v_add_co_ci_u32_e64 v15, s0, s9, v13, s0
	s_clause 0x1
	global_load_dwordx4 v[84:87], v[8:9], off offset:960
	global_load_dwordx4 v[88:91], v[10:11], off offset:16
	v_add_co_u32 v8, s0, 0x5000, v14
	v_lshlrev_b64 v[12:13], 4, v[36:37]
	v_add_co_ci_u32_e64 v9, s0, 0, v15, s0
	v_add_co_u32 v14, s0, 0x53c0, v14
	v_add_co_ci_u32_e64 v15, s0, 0, v15, s0
	v_add_co_u32 v18, s0, s8, v12
	v_add_co_ci_u32_e64 v19, s0, s9, v13, s0
	s_clause 0x1
	global_load_dwordx4 v[8:11], v[8:9], off offset:960
	global_load_dwordx4 v[12:15], v[14:15], off offset:16
	v_add_co_u32 v16, s0, 0x5000, v18
	v_add_co_ci_u32_e64 v17, s0, 0, v19, s0
	v_add_co_u32 v20, s0, 0x53c0, v18
	v_add_co_ci_u32_e64 v21, s0, 0, v19, s0
	s_clause 0x1
	global_load_dwordx4 v[16:19], v[16:17], off offset:960
	global_load_dwordx4 v[20:23], v[20:21], off offset:16
	ds_read_b128 v[92:95], v116 offset:21600
	ds_read_b128 v[96:99], v116 offset:43200
	;; [unrolled: 1-line block ×5, first 2 shown]
	ds_read_b128 v[133:136], v116
	ds_read_b128 v[141:144], v116 offset:28080
	ds_read_b128 v[137:140], v116 offset:47520
	;; [unrolled: 1-line block ×4, first 2 shown]
	s_waitcnt vmcnt(19) lgkmcnt(9)
	v_mul_f64 v[114:115], v[94:95], v[2:3]
	v_mul_f64 v[2:3], v[92:93], v[2:3]
	s_waitcnt vmcnt(17) lgkmcnt(7)
	v_mul_f64 v[155:156], v[123:124], v[34:35]
	v_mul_f64 v[34:35], v[121:122], v[34:35]
	;; [unrolled: 1-line block ×4, first 2 shown]
	s_waitcnt vmcnt(16) lgkmcnt(6)
	v_mul_f64 v[157:158], v[127:128], v[44:45]
	v_mul_f64 v[159:160], v[125:126], v[44:45]
	ds_read_b128 v[44:47], v116 offset:49680
	s_waitcnt vmcnt(15) lgkmcnt(6)
	v_mul_f64 v[161:162], v[131:132], v[40:41]
	v_mul_f64 v[163:164], v[129:130], v[40:41]
	s_waitcnt vmcnt(14) lgkmcnt(3)
	v_mul_f64 v[165:166], v[139:140], v[53:54]
	v_mul_f64 v[53:54], v[137:138], v[53:54]
	v_fma_f64 v[114:115], v[92:93], v[0:1], v[114:115]
	v_fma_f64 v[167:168], v[94:95], v[0:1], -v[2:3]
	ds_read_b128 v[92:95], v116 offset:56160
	v_fma_f64 v[123:124], v[123:124], v[32:33], -v[34:35]
	s_waitcnt vmcnt(13)
	v_mul_f64 v[34:35], v[143:144], v[30:31]
	v_fma_f64 v[153:154], v[96:97], v[4:5], v[153:154]
	v_fma_f64 v[169:170], v[98:99], v[4:5], -v[6:7]
	ds_read_b128 v[4:7], v116 offset:32400
	v_fma_f64 v[121:122], v[121:122], v[32:33], v[155:156]
	v_mul_f64 v[155:156], v[141:142], v[30:31]
	ds_read_b128 v[30:33], v116 offset:54000
	v_fma_f64 v[125:126], v[125:126], v[42:43], v[157:158]
	v_fma_f64 v[127:128], v[127:128], v[42:43], -v[159:160]
	ds_read_b128 v[40:43], v116 offset:34560
	s_waitcnt vmcnt(12) lgkmcnt(4)
	v_mul_f64 v[157:158], v[46:47], v[26:27]
	v_mul_f64 v[26:27], v[44:45], v[26:27]
	v_fma_f64 v[129:130], v[129:130], v[38:39], v[161:162]
	s_waitcnt vmcnt(11)
	v_mul_f64 v[159:160], v[147:148], v[62:63]
	v_mul_f64 v[62:63], v[145:146], v[62:63]
	v_fma_f64 v[131:132], v[131:132], v[38:39], -v[163:164]
	s_waitcnt vmcnt(10)
	v_mul_f64 v[38:39], v[151:152], v[66:67]
	v_mul_f64 v[66:67], v[149:150], v[66:67]
	v_fma_f64 v[137:138], v[137:138], v[51:52], v[165:166]
	v_fma_f64 v[139:140], v[139:140], v[51:52], -v[53:54]
	ds_read_b128 v[51:54], v116 offset:36720
	v_fma_f64 v[141:142], v[141:142], v[28:29], v[34:35]
	ds_read_b128 v[96:99], v116 offset:58320
	ds_read_b128 v[0:3], v119
	v_fma_f64 v[143:144], v[143:144], v[28:29], -v[155:156]
	v_fma_f64 v[157:158], v[44:45], v[24:25], v[157:158]
	v_fma_f64 v[163:164], v[46:47], v[24:25], -v[26:27]
	ds_read_b128 v[24:27], v116 offset:38880
	ds_read_b128 v[44:47], v116 offset:60480
	s_waitcnt vmcnt(9) lgkmcnt(7)
	v_mul_f64 v[161:162], v[6:7], v[70:71]
	v_mul_f64 v[34:35], v[4:5], v[70:71]
	s_waitcnt vmcnt(8) lgkmcnt(6)
	v_mul_f64 v[70:71], v[32:33], v[74:75]
	v_mul_f64 v[74:75], v[30:31], v[74:75]
	;; [unrolled: 3-line block ×3, first 2 shown]
	s_waitcnt vmcnt(6)
	v_mul_f64 v[155:156], v[94:95], v[82:83]
	v_mul_f64 v[82:83], v[92:93], v[82:83]
	v_fma_f64 v[145:146], v[145:146], v[60:61], v[159:160]
	v_fma_f64 v[147:148], v[147:148], v[60:61], -v[62:63]
	v_fma_f64 v[149:150], v[149:150], v[64:65], v[38:39]
	v_fma_f64 v[151:152], v[151:152], v[64:65], -v[66:67]
	v_add_f64 v[66:67], v[114:115], v[153:154]
	v_fma_f64 v[159:160], v[6:7], v[68:69], -v[34:35]
	s_waitcnt vmcnt(5) lgkmcnt(4)
	v_mul_f64 v[60:61], v[53:54], v[86:87]
	v_mul_f64 v[62:63], v[51:52], v[86:87]
	s_waitcnt vmcnt(4) lgkmcnt(3)
	v_mul_f64 v[86:87], v[98:99], v[90:91]
	v_mul_f64 v[64:65], v[96:97], v[90:91]
	v_fma_f64 v[90:91], v[4:5], v[68:69], v[161:162]
	v_add_f64 v[68:69], v[167:168], v[169:170]
	v_fma_f64 v[165:166], v[32:33], v[72:73], -v[74:75]
	ds_read_b128 v[32:35], v116 offset:62640
	v_fma_f64 v[161:162], v[30:31], v[72:73], v[70:71]
	v_fma_f64 v[171:172], v[40:41], v[76:77], v[28:29]
	v_fma_f64 v[173:174], v[42:43], v[76:77], -v[78:79]
	ds_read_b128 v[28:31], v116 offset:41040
	v_add_f64 v[70:71], v[121:122], v[125:126]
	ds_read_b128 v[38:41], v59
	v_fma_f64 v[4:5], v[92:93], v[80:81], v[155:156]
	s_waitcnt vmcnt(3) lgkmcnt(4)
	v_mul_f64 v[42:43], v[26:27], v[10:11]
	v_fma_f64 v[80:81], v[94:95], v[80:81], -v[82:83]
	v_mul_f64 v[72:73], v[24:25], v[10:11]
	v_add_f64 v[76:77], v[167:168], -v[169:170]
	v_add_f64 v[78:79], v[114:115], -v[153:154]
	v_add_f64 v[74:75], v[133:134], v[114:115]
	v_add_f64 v[114:115], v[129:130], v[137:138]
	v_fma_f64 v[82:83], v[51:52], v[84:85], v[60:61]
	v_fma_f64 v[84:85], v[53:54], v[84:85], -v[62:63]
	ds_read_b128 v[51:54], v58
	v_fma_f64 v[6:7], v[96:97], v[88:89], v[86:87]
	s_waitcnt vmcnt(2) lgkmcnt(4)
	v_mul_f64 v[60:61], v[46:47], v[14:15]
	v_fma_f64 v[10:11], v[98:99], v[88:89], -v[64:65]
	v_add_f64 v[62:63], v[123:124], v[127:128]
	v_fma_f64 v[64:65], v[66:67], -0.5, v[133:134]
	v_fma_f64 v[68:69], v[68:69], -0.5, v[135:136]
	s_waitcnt vmcnt(0) lgkmcnt(3)
	v_mul_f64 v[88:89], v[34:35], v[22:23]
	v_mul_f64 v[92:93], v[32:33], v[22:23]
	;; [unrolled: 1-line block ×3, first 2 shown]
	v_add_f64 v[66:67], v[135:136], v[167:168]
	s_waitcnt lgkmcnt(2)
	v_mul_f64 v[86:87], v[30:31], v[18:19]
	v_mul_f64 v[18:19], v[28:29], v[18:19]
	v_fma_f64 v[96:97], v[24:25], v[8:9], v[42:43]
	s_waitcnt lgkmcnt(1)
	v_fma_f64 v[42:43], v[70:71], -0.5, v[38:39]
	v_add_f64 v[98:99], v[123:124], -v[127:128]
	v_add_f64 v[94:95], v[40:41], v[123:124]
	v_add_f64 v[70:71], v[38:39], v[121:122]
	;; [unrolled: 1-line block ×3, first 2 shown]
	v_fma_f64 v[8:9], v[26:27], v[8:9], -v[72:73]
	v_fma_f64 v[133:134], v[44:45], v[12:13], v[60:61]
	v_fma_f64 v[60:61], v[62:63], -0.5, v[40:41]
	v_add_f64 v[62:63], v[121:122], -v[125:126]
	v_fma_f64 v[22:23], v[76:77], s[4:5], v[64:65]
	v_fma_f64 v[24:25], v[78:79], s[6:7], v[68:69]
	;; [unrolled: 1-line block ×3, first 2 shown]
	v_fma_f64 v[92:93], v[34:35], v[20:21], -v[92:93]
	s_waitcnt lgkmcnt(0)
	v_add_f64 v[20:21], v[53:54], v[131:132]
	v_add_f64 v[34:35], v[51:52], v[129:130]
	v_fma_f64 v[46:47], v[46:47], v[12:13], -v[14:15]
	v_add_f64 v[14:15], v[66:67], v[169:170]
	v_add_f64 v[12:13], v[74:75], v[153:154]
	v_fma_f64 v[38:39], v[76:77], s[6:7], v[64:65]
	v_fma_f64 v[40:41], v[78:79], s[4:5], v[68:69]
	v_fma_f64 v[121:122], v[30:31], v[16:17], -v[18:19]
	v_fma_f64 v[26:27], v[98:99], s[4:5], v[42:43]
	v_fma_f64 v[30:31], v[98:99], s[6:7], v[42:43]
	v_add_f64 v[98:99], v[141:142], v[157:158]
	v_fma_f64 v[86:87], v[28:29], v[16:17], v[86:87]
	v_add_f64 v[18:19], v[94:95], v[127:128]
	v_add_f64 v[16:17], v[70:71], v[125:126]
	ds_read_b128 v[42:45], v120
	v_fma_f64 v[88:89], v[114:115], -0.5, v[51:52]
	v_fma_f64 v[94:95], v[123:124], -0.5, v[53:54]
	v_add_f64 v[114:115], v[131:132], -v[139:140]
	v_add_f64 v[123:124], v[129:130], -v[137:138]
	v_fma_f64 v[28:29], v[62:63], s[6:7], v[60:61]
	v_fma_f64 v[32:33], v[62:63], s[4:5], v[60:61]
	ds_read_b128 v[51:54], v57
	ds_read_b128 v[60:63], v56
	;; [unrolled: 1-line block ×5, first 2 shown]
	v_add_f64 v[125:126], v[143:144], v[163:164]
	s_waitcnt lgkmcnt(0)
	s_barrier
	buffer_gl0_inv
	v_add_f64 v[78:79], v[20:21], v[139:140]
	v_add_f64 v[76:77], v[34:35], v[137:138]
	v_add_f64 v[20:21], v[145:146], v[149:150]
	ds_write_b128 v116, v[22:25] offset:21600
	v_add_f64 v[22:23], v[147:148], v[151:152]
	v_add_f64 v[34:35], v[90:91], v[161:162]
	ds_write_b128 v116, v[12:15]
	ds_write_b128 v116, v[38:41] offset:43200
	ds_write_b128 v59, v[16:19]
	v_fma_f64 v[38:39], v[98:99], -0.5, v[42:43]
	v_add_f64 v[98:99], v[159:160], v[165:166]
	v_add_f64 v[24:25], v[44:45], v[143:144]
	;; [unrolled: 1-line block ×3, first 2 shown]
	v_fma_f64 v[12:13], v[114:115], s[4:5], v[88:89]
	v_fma_f64 v[14:15], v[123:124], s[6:7], v[94:95]
	v_add_f64 v[42:43], v[143:144], -v[163:164]
	ds_write_b128 v59, v[26:29] offset:21600
	ds_write_b128 v59, v[30:33] offset:43200
	v_add_f64 v[28:29], v[141:142], -v[157:158]
	v_fma_f64 v[26:27], v[125:126], -0.5, v[44:45]
	v_fma_f64 v[16:17], v[114:115], s[6:7], v[88:89]
	v_add_f64 v[30:31], v[53:54], v[147:148]
	v_add_f64 v[32:33], v[51:52], v[145:146]
	;; [unrolled: 1-line block ×3, first 2 shown]
	ds_write_b128 v58, v[76:79]
	v_fma_f64 v[44:45], v[20:21], -0.5, v[51:52]
	v_add_f64 v[51:52], v[147:148], -v[151:152]
	v_fma_f64 v[53:54], v[22:23], -0.5, v[53:54]
	v_add_f64 v[76:77], v[145:146], -v[149:150]
	v_fma_f64 v[18:19], v[123:124], s[4:5], v[94:95]
	v_fma_f64 v[78:79], v[34:35], -0.5, v[60:61]
	v_add_f64 v[59:60], v[60:61], v[90:91]
	v_add_f64 v[94:95], v[159:160], -v[165:166]
	v_fma_f64 v[61:62], v[98:99], -0.5, v[62:63]
	v_add_f64 v[90:91], v[90:91], -v[161:162]
	v_add_f64 v[98:99], v[171:172], v[4:5]
	v_add_f64 v[114:115], v[173:174], v[80:81]
	;; [unrolled: 1-line block ×5, first 2 shown]
	ds_write_b128 v58, v[12:15] offset:21600
	v_add_f64 v[14:15], v[24:25], v[163:164]
	v_add_f64 v[12:13], v[40:41], v[157:158]
	v_fma_f64 v[20:21], v[42:43], s[4:5], v[38:39]
	v_fma_f64 v[24:25], v[42:43], s[6:7], v[38:39]
	;; [unrolled: 1-line block ×4, first 2 shown]
	v_add_f64 v[28:29], v[32:33], v[149:150]
	v_fma_f64 v[32:33], v[51:52], s[4:5], v[44:45]
	v_fma_f64 v[38:39], v[51:52], s[6:7], v[44:45]
	;; [unrolled: 1-line block ×4, first 2 shown]
	v_add_f64 v[76:77], v[96:97], v[133:134]
	v_add_f64 v[44:45], v[88:89], v[165:166]
	v_add_f64 v[88:89], v[8:9], v[46:47]
	v_add_f64 v[42:43], v[59:60], v[161:162]
	v_fma_f64 v[51:52], v[94:95], s[4:5], v[78:79]
	v_fma_f64 v[59:60], v[94:95], s[6:7], v[78:79]
	v_add_f64 v[78:79], v[86:87], v[135:136]
	v_add_f64 v[94:95], v[121:122], v[92:93]
	v_fma_f64 v[53:54], v[90:91], s[6:7], v[61:62]
	v_fma_f64 v[61:62], v[90:91], s[4:5], v[61:62]
	v_fma_f64 v[90:91], v[98:99], -0.5, v[0:1]
	v_add_f64 v[0:1], v[0:1], v[171:172]
	v_fma_f64 v[98:99], v[114:115], -0.5, v[2:3]
	v_add_f64 v[114:115], v[173:174], -v[80:81]
	v_add_f64 v[2:3], v[123:124], v[80:81]
	v_add_f64 v[80:81], v[171:172], -v[4:5]
	v_fma_f64 v[123:124], v[125:126], -0.5, v[64:65]
	v_add_f64 v[125:126], v[66:67], v[84:85]
	v_add_f64 v[129:130], v[64:65], v[82:83]
	v_add_f64 v[84:85], v[84:85], -v[10:11]
	v_fma_f64 v[127:128], v[127:128], -0.5, v[66:67]
	v_add_f64 v[82:83], v[82:83], -v[6:7]
	v_add_f64 v[137:138], v[70:71], v[8:9]
	v_add_f64 v[139:140], v[68:69], v[96:97]
	v_fma_f64 v[131:132], v[76:77], -0.5, v[68:69]
	v_add_f64 v[141:142], v[8:9], -v[46:47]
	v_fma_f64 v[143:144], v[88:89], -0.5, v[70:71]
	v_add_f64 v[96:97], v[96:97], -v[133:134]
	v_add_f64 v[147:148], v[74:75], v[121:122]
	v_add_f64 v[149:150], v[72:73], v[86:87]
	;; [unrolled: 1-line block ×3, first 2 shown]
	v_fma_f64 v[145:146], v[78:79], -0.5, v[72:73]
	v_add_f64 v[121:122], v[121:122], -v[92:93]
	v_fma_f64 v[151:152], v[94:95], -0.5, v[74:75]
	v_add_f64 v[153:154], v[86:87], -v[135:136]
	v_add_f64 v[0:1], v[0:1], v[4:5]
	v_fma_f64 v[63:64], v[114:115], s[4:5], v[90:91]
	v_fma_f64 v[65:66], v[80:81], s[6:7], v[98:99]
	v_fma_f64 v[67:68], v[114:115], s[6:7], v[90:91]
	v_fma_f64 v[69:70], v[80:81], s[4:5], v[98:99]
	v_add_f64 v[8:9], v[125:126], v[10:11]
	v_add_f64 v[6:7], v[129:130], v[6:7]
	v_fma_f64 v[71:72], v[84:85], s[4:5], v[123:124]
	v_fma_f64 v[73:74], v[82:83], s[6:7], v[127:128]
	v_fma_f64 v[75:76], v[84:85], s[6:7], v[123:124]
	v_fma_f64 v[77:78], v[82:83], s[4:5], v[127:128]
	v_add_f64 v[81:82], v[137:138], v[46:47]
	v_add_f64 v[79:80], v[139:140], v[133:134]
	v_fma_f64 v[83:84], v[141:142], s[4:5], v[131:132]
	v_fma_f64 v[85:86], v[96:97], s[6:7], v[143:144]
	v_fma_f64 v[87:88], v[141:142], s[6:7], v[131:132]
	v_fma_f64 v[89:90], v[96:97], s[4:5], v[143:144]
	v_add_f64 v[93:94], v[147:148], v[92:93]
	v_add_f64 v[91:92], v[149:150], v[135:136]
	v_fma_f64 v[95:96], v[121:122], s[4:5], v[145:146]
	v_fma_f64 v[121:122], v[121:122], s[6:7], v[145:146]
	;; [unrolled: 1-line block ×4, first 2 shown]
	ds_write_b128 v58, v[16:19] offset:43200
	ds_write_b128 v120, v[12:15]
	ds_write_b128 v120, v[20:23] offset:21600
	ds_write_b128 v120, v[24:27] offset:43200
	ds_write_b128 v57, v[28:31]
	ds_write_b128 v57, v[32:35] offset:21600
	;; [unrolled: 3-line block ×7, first 2 shown]
	ds_write_b128 v48, v[121:124] offset:43200
	s_waitcnt lgkmcnt(0)
	s_barrier
	buffer_gl0_inv
	ds_read_b128 v[4:7], v116
	v_sub_nc_u32_e32 v10, 0, v101
	s_addc_u32 s4, s9, 0
	s_mov_b32 s5, exec_lo
                                        ; implicit-def: $vgpr2_vgpr3
                                        ; implicit-def: $vgpr8_vgpr9
	v_cmpx_ne_u32_e32 0, v100
	s_xor_b32 s5, exec_lo, s5
	s_cbranch_execz .LBB0_15
; %bb.14:
	v_mov_b32_e32 v101, v37
	v_lshlrev_b64 v[0:1], 4, v[100:101]
	v_add_co_u32 v0, s0, s1, v0
	v_add_co_ci_u32_e64 v1, s0, s4, v1, s0
	global_load_dwordx4 v[11:14], v[0:1], off
	ds_read_b128 v[0:3], v10 offset:64800
	s_waitcnt lgkmcnt(0)
	v_add_f64 v[8:9], v[4:5], -v[0:1]
	v_add_f64 v[15:16], v[6:7], v[2:3]
	v_add_f64 v[2:3], v[6:7], -v[2:3]
	v_add_f64 v[0:1], v[4:5], v[0:1]
	v_mul_f64 v[6:7], v[8:9], 0.5
	v_mul_f64 v[4:5], v[15:16], 0.5
	;; [unrolled: 1-line block ×3, first 2 shown]
	s_waitcnt vmcnt(0)
	v_mul_f64 v[8:9], v[6:7], v[13:14]
	v_fma_f64 v[15:16], v[4:5], v[13:14], v[2:3]
	v_fma_f64 v[2:3], v[4:5], v[13:14], -v[2:3]
	v_fma_f64 v[17:18], v[0:1], 0.5, v[8:9]
	v_fma_f64 v[0:1], v[0:1], 0.5, -v[8:9]
	v_fma_f64 v[8:9], -v[11:12], v[6:7], v[15:16]
	v_fma_f64 v[2:3], -v[11:12], v[6:7], v[2:3]
	v_fma_f64 v[13:14], v[4:5], v[11:12], v[17:18]
	v_fma_f64 v[0:1], -v[4:5], v[11:12], v[0:1]
                                        ; implicit-def: $vgpr4_vgpr5
	ds_write_b64 v116, v[13:14]
.LBB0_15:
	s_or_saveexec_b32 s0, s5
	v_mul_i32_i24_e32 v12, 0xffffff70, v102
	v_mul_i32_i24_e32 v11, 0xffffff70, v113
	s_xor_b32 exec_lo, exec_lo, s0
	s_cbranch_execz .LBB0_17
; %bb.16:
	v_mov_b32_e32 v17, 0
	s_waitcnt lgkmcnt(0)
	v_add_f64 v[15:16], v[4:5], v[6:7]
	v_add_f64 v[0:1], v[4:5], -v[6:7]
	v_mov_b32_e32 v8, 0
	v_mov_b32_e32 v9, 0
	ds_read_b64 v[13:14], v17 offset:32408
	v_mov_b32_e32 v2, v8
	v_mov_b32_e32 v3, v9
	s_waitcnt lgkmcnt(0)
	v_xor_b32_e32 v14, 0x80000000, v14
	ds_write_b64 v116, v[15:16]
	ds_write_b64 v17, v[13:14] offset:32408
.LBB0_17:
	s_or_b32 exec_lo, exec_lo, s0
	v_mov_b32_e32 v103, 0
	ds_write_b64 v116, v[8:9] offset:8
	v_add_nc_u32_e32 v12, v117, v12
	ds_write_b128 v10, v[0:3] offset:64800
	s_waitcnt lgkmcnt(2)
	v_lshlrev_b64 v[4:5], 4, v[102:103]
	v_mov_b32_e32 v114, v103
	v_add_nc_u32_e32 v102, 0x546, v100
	v_lshlrev_b64 v[13:14], 4, v[113:114]
	v_add_co_u32 v4, s0, s1, v4
	v_add_co_ci_u32_e64 v5, s0, s4, v5, s0
	v_mov_b32_e32 v113, v103
	v_add_co_u32 v13, s0, s1, v13
	global_load_dwordx4 v[4:7], v[4:5], off
	v_add_co_ci_u32_e64 v14, s0, s4, v14, s0
	v_lshlrev_b64 v[8:9], 4, v[112:113]
	v_mov_b32_e32 v112, v103
	global_load_dwordx4 v[13:16], v[13:14], off
	ds_read_b128 v[0:3], v12
	ds_read_b128 v[17:20], v10 offset:62640
	v_add_co_u32 v8, s0, s1, v8
	v_add_co_ci_u32_e64 v9, s0, s4, v9, s0
	global_load_dwordx4 v[21:24], v[8:9], off
	s_waitcnt lgkmcnt(0)
	v_add_f64 v[8:9], v[0:1], -v[17:18]
	v_add_f64 v[25:26], v[2:3], v[19:20]
	v_add_f64 v[2:3], v[2:3], -v[19:20]
	v_add_f64 v[0:1], v[0:1], v[17:18]
	v_mul_f64 v[8:9], v[8:9], 0.5
	v_mul_f64 v[19:20], v[25:26], 0.5
	;; [unrolled: 1-line block ×3, first 2 shown]
	s_waitcnt vmcnt(2)
	v_mul_f64 v[17:18], v[8:9], v[6:7]
	v_fma_f64 v[25:26], v[19:20], v[6:7], v[2:3]
	v_fma_f64 v[6:7], v[19:20], v[6:7], -v[2:3]
	v_fma_f64 v[27:28], v[0:1], 0.5, v[17:18]
	v_fma_f64 v[17:18], v[0:1], 0.5, -v[17:18]
	v_fma_f64 v[2:3], -v[4:5], v[8:9], v[25:26]
	v_fma_f64 v[6:7], -v[4:5], v[8:9], v[6:7]
	v_lshlrev_b64 v[8:9], 4, v[111:112]
	v_mov_b32_e32 v111, v103
	v_add_co_u32 v8, s0, s1, v8
	v_add_co_ci_u32_e64 v9, s0, s4, v9, s0
	v_fma_f64 v[0:1], v[19:20], v[4:5], v[27:28]
	v_fma_f64 v[4:5], -v[19:20], v[4:5], v[17:18]
	v_add_nc_u32_e32 v27, v118, v11
	ds_write_b128 v12, v[0:3]
	ds_write_b128 v10, v[4:7] offset:62640
	ds_read_b128 v[0:3], v27
	ds_read_b128 v[4:7], v10 offset:60480
	global_load_dwordx4 v[17:20], v[8:9], off
	s_waitcnt lgkmcnt(0)
	v_add_f64 v[8:9], v[0:1], -v[4:5]
	v_add_f64 v[11:12], v[2:3], v[6:7]
	v_add_f64 v[2:3], v[2:3], -v[6:7]
	v_add_f64 v[0:1], v[0:1], v[4:5]
	v_mul_f64 v[6:7], v[8:9], 0.5
	v_mul_f64 v[8:9], v[11:12], 0.5
	v_mul_f64 v[2:3], v[2:3], 0.5
	s_waitcnt vmcnt(2)
	v_mul_f64 v[4:5], v[6:7], v[15:16]
	v_fma_f64 v[11:12], v[8:9], v[15:16], v[2:3]
	v_fma_f64 v[15:16], v[8:9], v[15:16], -v[2:3]
	v_fma_f64 v[25:26], v[0:1], 0.5, v[4:5]
	v_fma_f64 v[4:5], v[0:1], 0.5, -v[4:5]
	v_fma_f64 v[2:3], -v[13:14], v[6:7], v[11:12]
	v_fma_f64 v[6:7], -v[13:14], v[6:7], v[15:16]
	v_fma_f64 v[0:1], v[8:9], v[13:14], v[25:26]
	v_fma_f64 v[4:5], -v[8:9], v[13:14], v[4:5]
	v_lshlrev_b64 v[8:9], 4, v[110:111]
	v_mov_b32_e32 v110, v103
	ds_write_b128 v27, v[0:3]
	ds_write_b128 v10, v[4:7] offset:60480
	v_add_co_u32 v8, s0, s1, v8
	ds_read_b128 v[0:3], v120
	ds_read_b128 v[4:7], v10 offset:58320
	v_add_co_ci_u32_e64 v9, s0, s4, v9, s0
	global_load_dwordx4 v[11:14], v[8:9], off
	s_waitcnt lgkmcnt(0)
	v_add_f64 v[8:9], v[0:1], -v[4:5]
	v_add_f64 v[15:16], v[2:3], v[6:7]
	v_add_f64 v[2:3], v[2:3], -v[6:7]
	v_add_f64 v[0:1], v[0:1], v[4:5]
	v_mul_f64 v[6:7], v[8:9], 0.5
	v_mul_f64 v[8:9], v[15:16], 0.5
	v_mul_f64 v[2:3], v[2:3], 0.5
	s_waitcnt vmcnt(2)
	v_mul_f64 v[4:5], v[6:7], v[23:24]
	v_fma_f64 v[15:16], v[8:9], v[23:24], v[2:3]
	v_fma_f64 v[23:24], v[8:9], v[23:24], -v[2:3]
	v_fma_f64 v[25:26], v[0:1], 0.5, v[4:5]
	v_fma_f64 v[4:5], v[0:1], 0.5, -v[4:5]
	v_fma_f64 v[2:3], -v[21:22], v[6:7], v[15:16]
	v_fma_f64 v[6:7], -v[21:22], v[6:7], v[23:24]
	v_fma_f64 v[0:1], v[8:9], v[21:22], v[25:26]
	v_fma_f64 v[4:5], -v[8:9], v[21:22], v[4:5]
	v_lshlrev_b64 v[8:9], 4, v[109:110]
	v_mov_b32_e32 v109, v103
	ds_write_b128 v120, v[0:3]
	ds_write_b128 v10, v[4:7] offset:58320
	v_add_co_u32 v8, s0, s1, v8
	ds_read_b128 v[0:3], v57
	ds_read_b128 v[4:7], v10 offset:56160
	v_add_co_ci_u32_e64 v9, s0, s4, v9, s0
	;; [unrolled: 27-line block ×4, first 2 shown]
	global_load_dwordx4 v[11:14], v[8:9], off
	s_waitcnt lgkmcnt(0)
	v_add_f64 v[8:9], v[0:1], -v[4:5]
	v_add_f64 v[19:20], v[2:3], v[6:7]
	v_add_f64 v[2:3], v[2:3], -v[6:7]
	v_add_f64 v[0:1], v[0:1], v[4:5]
	v_mul_f64 v[6:7], v[8:9], 0.5
	v_mul_f64 v[8:9], v[19:20], 0.5
	;; [unrolled: 1-line block ×3, first 2 shown]
	s_waitcnt vmcnt(2)
	v_mul_f64 v[4:5], v[6:7], v[23:24]
	v_fma_f64 v[19:20], v[8:9], v[23:24], v[2:3]
	v_fma_f64 v[23:24], v[8:9], v[23:24], -v[2:3]
	v_fma_f64 v[25:26], v[0:1], 0.5, v[4:5]
	v_fma_f64 v[4:5], v[0:1], 0.5, -v[4:5]
	v_fma_f64 v[2:3], -v[21:22], v[6:7], v[19:20]
	v_fma_f64 v[6:7], -v[21:22], v[6:7], v[23:24]
	v_fma_f64 v[0:1], v[8:9], v[21:22], v[25:26]
	v_fma_f64 v[4:5], -v[8:9], v[21:22], v[4:5]
	v_lshlrev_b64 v[8:9], 4, v[106:107]
	ds_write_b128 v119, v[0:3]
	ds_write_b128 v10, v[4:7] offset:51840
	v_add_co_u32 v8, s0, s1, v8
	ds_read_b128 v[0:3], v50
	ds_read_b128 v[4:7], v10 offset:49680
	v_add_co_ci_u32_e64 v9, s0, s4, v9, s0
	global_load_dwordx4 v[19:22], v[8:9], off
	s_waitcnt lgkmcnt(0)
	v_add_f64 v[8:9], v[0:1], -v[4:5]
	v_add_f64 v[23:24], v[2:3], v[6:7]
	v_add_f64 v[2:3], v[2:3], -v[6:7]
	v_add_f64 v[0:1], v[0:1], v[4:5]
	v_mul_f64 v[6:7], v[8:9], 0.5
	v_mul_f64 v[8:9], v[23:24], 0.5
	v_mul_f64 v[2:3], v[2:3], 0.5
	s_waitcnt vmcnt(2)
	v_mul_f64 v[4:5], v[6:7], v[17:18]
	v_fma_f64 v[23:24], v[8:9], v[17:18], v[2:3]
	v_fma_f64 v[17:18], v[8:9], v[17:18], -v[2:3]
	v_fma_f64 v[25:26], v[0:1], 0.5, v[4:5]
	v_fma_f64 v[4:5], v[0:1], 0.5, -v[4:5]
	v_fma_f64 v[2:3], -v[15:16], v[6:7], v[23:24]
	v_fma_f64 v[6:7], -v[15:16], v[6:7], v[17:18]
	v_fma_f64 v[0:1], v[8:9], v[15:16], v[25:26]
	v_fma_f64 v[4:5], -v[8:9], v[15:16], v[4:5]
	v_lshlrev_b64 v[8:9], 4, v[102:103]
	v_add_nc_u32_e32 v102, 0x5cd, v100
	ds_write_b128 v50, v[0:3]
	ds_write_b128 v10, v[4:7] offset:49680
	v_add_co_u32 v8, s0, s1, v8
	ds_read_b128 v[0:3], v49
	ds_read_b128 v[4:7], v10 offset:47520
	v_add_co_ci_u32_e64 v9, s0, s4, v9, s0
	global_load_dwordx4 v[15:18], v[8:9], off
	s_waitcnt lgkmcnt(0)
	v_add_f64 v[8:9], v[0:1], -v[4:5]
	v_add_f64 v[23:24], v[2:3], v[6:7]
	v_add_f64 v[2:3], v[2:3], -v[6:7]
	v_add_f64 v[0:1], v[0:1], v[4:5]
	v_mul_f64 v[6:7], v[8:9], 0.5
	v_mul_f64 v[8:9], v[23:24], 0.5
	v_mul_f64 v[2:3], v[2:3], 0.5
	s_waitcnt vmcnt(2)
	v_mul_f64 v[4:5], v[6:7], v[13:14]
	v_fma_f64 v[23:24], v[8:9], v[13:14], v[2:3]
	v_fma_f64 v[13:14], v[8:9], v[13:14], -v[2:3]
	v_fma_f64 v[25:26], v[0:1], 0.5, v[4:5]
	v_fma_f64 v[4:5], v[0:1], 0.5, -v[4:5]
	v_fma_f64 v[2:3], -v[11:12], v[6:7], v[23:24]
	v_fma_f64 v[6:7], -v[11:12], v[6:7], v[13:14]
	v_fma_f64 v[0:1], v[8:9], v[11:12], v[25:26]
	v_fma_f64 v[4:5], -v[8:9], v[11:12], v[4:5]
	v_lshlrev_b64 v[8:9], 4, v[102:103]
	v_add_nc_u32_e32 v102, 0x654, v100
	;; [unrolled: 27-line block ×3, first 2 shown]
	ds_write_b128 v48, v[0:3]
	ds_write_b128 v10, v[4:7] offset:45360
	v_add_co_u32 v8, s0, s1, v8
	ds_read_b128 v[0:3], v116 offset:21600
	ds_read_b128 v[4:7], v10 offset:43200
	v_add_co_ci_u32_e64 v9, s0, s4, v9, s0
	global_load_dwordx4 v[19:22], v[8:9], off
	s_waitcnt lgkmcnt(0)
	v_add_f64 v[8:9], v[0:1], -v[4:5]
	v_add_f64 v[23:24], v[2:3], v[6:7]
	v_add_f64 v[2:3], v[2:3], -v[6:7]
	v_add_f64 v[0:1], v[0:1], v[4:5]
	v_mul_f64 v[6:7], v[8:9], 0.5
	v_mul_f64 v[8:9], v[23:24], 0.5
	;; [unrolled: 1-line block ×3, first 2 shown]
	s_waitcnt vmcnt(2)
	v_mul_f64 v[4:5], v[6:7], v[17:18]
	v_fma_f64 v[23:24], v[8:9], v[17:18], v[2:3]
	v_fma_f64 v[17:18], v[8:9], v[17:18], -v[2:3]
	v_fma_f64 v[25:26], v[0:1], 0.5, v[4:5]
	v_fma_f64 v[4:5], v[0:1], 0.5, -v[4:5]
	v_fma_f64 v[2:3], -v[15:16], v[6:7], v[23:24]
	v_fma_f64 v[6:7], -v[15:16], v[6:7], v[17:18]
	v_fma_f64 v[0:1], v[8:9], v[15:16], v[25:26]
	v_fma_f64 v[4:5], -v[8:9], v[15:16], v[4:5]
	v_lshlrev_b64 v[8:9], 4, v[102:103]
	v_add_nc_u32_e32 v102, 0x762, v100
	ds_write_b128 v116, v[0:3] offset:21600
	ds_write_b128 v10, v[4:7] offset:43200
	v_add_co_u32 v8, s0, s1, v8
	ds_read_b128 v[0:3], v116 offset:23760
	ds_read_b128 v[4:7], v10 offset:41040
	v_add_co_ci_u32_e64 v9, s0, s4, v9, s0
	global_load_dwordx4 v[15:18], v[8:9], off
	s_waitcnt lgkmcnt(0)
	v_add_f64 v[8:9], v[0:1], -v[4:5]
	v_add_f64 v[23:24], v[2:3], v[6:7]
	v_add_f64 v[2:3], v[2:3], -v[6:7]
	v_add_f64 v[0:1], v[0:1], v[4:5]
	v_mul_f64 v[6:7], v[8:9], 0.5
	v_mul_f64 v[8:9], v[23:24], 0.5
	;; [unrolled: 1-line block ×3, first 2 shown]
	s_waitcnt vmcnt(2)
	v_mul_f64 v[4:5], v[6:7], v[13:14]
	v_fma_f64 v[23:24], v[8:9], v[13:14], v[2:3]
	v_fma_f64 v[13:14], v[8:9], v[13:14], -v[2:3]
	v_fma_f64 v[25:26], v[0:1], 0.5, v[4:5]
	v_fma_f64 v[4:5], v[0:1], 0.5, -v[4:5]
	v_fma_f64 v[2:3], -v[11:12], v[6:7], v[23:24]
	v_fma_f64 v[6:7], -v[11:12], v[6:7], v[13:14]
	v_fma_f64 v[0:1], v[8:9], v[11:12], v[25:26]
	v_fma_f64 v[4:5], -v[8:9], v[11:12], v[4:5]
	v_lshlrev_b64 v[8:9], 4, v[102:103]
	ds_write_b128 v116, v[0:3] offset:23760
	ds_write_b128 v10, v[4:7] offset:41040
	v_add_co_u32 v8, s0, s1, v8
	ds_read_b128 v[0:3], v116 offset:25920
	ds_read_b128 v[4:7], v10 offset:38880
	v_add_co_ci_u32_e64 v9, s0, s4, v9, s0
	global_load_dwordx4 v[11:14], v[8:9], off
	s_waitcnt lgkmcnt(0)
	v_add_f64 v[8:9], v[0:1], -v[4:5]
	v_add_f64 v[23:24], v[2:3], v[6:7]
	v_add_f64 v[2:3], v[2:3], -v[6:7]
	v_add_f64 v[0:1], v[0:1], v[4:5]
	v_mul_f64 v[6:7], v[8:9], 0.5
	v_mul_f64 v[8:9], v[23:24], 0.5
	;; [unrolled: 1-line block ×3, first 2 shown]
	s_waitcnt vmcnt(2)
	v_mul_f64 v[4:5], v[6:7], v[21:22]
	v_fma_f64 v[23:24], v[8:9], v[21:22], v[2:3]
	v_fma_f64 v[21:22], v[8:9], v[21:22], -v[2:3]
	v_fma_f64 v[25:26], v[0:1], 0.5, v[4:5]
	v_fma_f64 v[4:5], v[0:1], 0.5, -v[4:5]
	v_fma_f64 v[2:3], -v[19:20], v[6:7], v[23:24]
	v_fma_f64 v[6:7], -v[19:20], v[6:7], v[21:22]
	v_fma_f64 v[0:1], v[8:9], v[19:20], v[25:26]
	v_fma_f64 v[4:5], -v[8:9], v[19:20], v[4:5]
	ds_write_b128 v116, v[0:3] offset:25920
	ds_write_b128 v10, v[4:7] offset:38880
	ds_read_b128 v[0:3], v116 offset:28080
	ds_read_b128 v[4:7], v10 offset:36720
	s_waitcnt lgkmcnt(0)
	v_add_f64 v[8:9], v[0:1], -v[4:5]
	v_add_f64 v[19:20], v[2:3], v[6:7]
	v_add_f64 v[2:3], v[2:3], -v[6:7]
	v_add_f64 v[0:1], v[0:1], v[4:5]
	v_mul_f64 v[6:7], v[8:9], 0.5
	v_mul_f64 v[8:9], v[19:20], 0.5
	;; [unrolled: 1-line block ×3, first 2 shown]
	s_waitcnt vmcnt(1)
	v_mul_f64 v[4:5], v[6:7], v[17:18]
	v_fma_f64 v[19:20], v[8:9], v[17:18], v[2:3]
	v_fma_f64 v[17:18], v[8:9], v[17:18], -v[2:3]
	v_fma_f64 v[21:22], v[0:1], 0.5, v[4:5]
	v_fma_f64 v[4:5], v[0:1], 0.5, -v[4:5]
	v_fma_f64 v[2:3], -v[15:16], v[6:7], v[19:20]
	v_fma_f64 v[6:7], -v[15:16], v[6:7], v[17:18]
	v_fma_f64 v[0:1], v[8:9], v[15:16], v[21:22]
	v_fma_f64 v[4:5], -v[8:9], v[15:16], v[4:5]
	ds_write_b128 v116, v[0:3] offset:28080
	ds_write_b128 v10, v[4:7] offset:36720
	ds_read_b128 v[0:3], v116 offset:30240
	ds_read_b128 v[4:7], v10 offset:34560
	s_waitcnt lgkmcnt(0)
	v_add_f64 v[8:9], v[0:1], -v[4:5]
	v_add_f64 v[15:16], v[2:3], v[6:7]
	v_add_f64 v[2:3], v[2:3], -v[6:7]
	v_add_f64 v[0:1], v[0:1], v[4:5]
	v_mul_f64 v[6:7], v[8:9], 0.5
	v_mul_f64 v[8:9], v[15:16], 0.5
	;; [unrolled: 1-line block ×3, first 2 shown]
	s_waitcnt vmcnt(0)
	v_mul_f64 v[4:5], v[6:7], v[13:14]
	v_fma_f64 v[15:16], v[8:9], v[13:14], v[2:3]
	v_fma_f64 v[13:14], v[8:9], v[13:14], -v[2:3]
	v_fma_f64 v[17:18], v[0:1], 0.5, v[4:5]
	v_fma_f64 v[4:5], v[0:1], 0.5, -v[4:5]
	v_fma_f64 v[2:3], -v[11:12], v[6:7], v[15:16]
	v_fma_f64 v[6:7], -v[11:12], v[6:7], v[13:14]
	v_fma_f64 v[0:1], v[8:9], v[11:12], v[17:18]
	v_fma_f64 v[4:5], -v[8:9], v[11:12], v[4:5]
	ds_write_b128 v116, v[0:3] offset:30240
	ds_write_b128 v10, v[4:7] offset:34560
	s_waitcnt lgkmcnt(0)
	s_barrier
	buffer_gl0_inv
	s_and_saveexec_b32 s0, vcc_lo
	s_cbranch_execz .LBB0_20
; %bb.18:
	v_mov_b32_e32 v101, v103
	ds_read_b128 v[2:5], v116
	v_add_co_u32 v0, vcc_lo, s2, v104
	v_add_co_ci_u32_e32 v1, vcc_lo, s3, v105, vcc_lo
	v_lshlrev_b64 v[18:19], 4, v[100:101]
	ds_read_b128 v[6:9], v116 offset:2160
	ds_read_b128 v[10:13], v116 offset:4320
	;; [unrolled: 1-line block ×3, first 2 shown]
	v_add_co_u32 v22, vcc_lo, v0, v18
	v_add_co_ci_u32_e32 v23, vcc_lo, v1, v19, vcc_lo
	ds_read_b128 v[18:21], v116 offset:8640
	v_add_co_u32 v24, vcc_lo, 0x800, v22
	v_add_co_ci_u32_e32 v25, vcc_lo, 0, v23, vcc_lo
	s_waitcnt lgkmcnt(4)
	global_store_dwordx4 v[22:23], v[2:5], off
	v_add_co_u32 v2, vcc_lo, 0x1000, v22
	v_add_co_ci_u32_e32 v3, vcc_lo, 0, v23, vcc_lo
	v_add_co_u32 v4, vcc_lo, 0x1800, v22
	v_add_co_ci_u32_e32 v5, vcc_lo, 0, v23, vcc_lo
	;; [unrolled: 2-line block ×3, first 2 shown]
	s_waitcnt lgkmcnt(3)
	global_store_dwordx4 v[24:25], v[6:9], off offset:112
	s_waitcnt lgkmcnt(2)
	global_store_dwordx4 v[2:3], v[10:13], off offset:224
	s_waitcnt lgkmcnt(1)
	global_store_dwordx4 v[4:5], v[14:17], off offset:336
	ds_read_b128 v[2:5], v116 offset:10800
	s_waitcnt lgkmcnt(1)
	global_store_dwordx4 v[26:27], v[18:21], off offset:448
	ds_read_b128 v[6:9], v116 offset:12960
	ds_read_b128 v[10:13], v116 offset:15120
	ds_read_b128 v[14:17], v116 offset:17280
	v_add_co_u32 v18, vcc_lo, 0x2800, v22
	v_add_co_ci_u32_e32 v19, vcc_lo, 0, v23, vcc_lo
	v_add_co_u32 v20, vcc_lo, 0x3000, v22
	v_add_co_ci_u32_e32 v21, vcc_lo, 0, v23, vcc_lo
	v_add_co_u32 v24, vcc_lo, 0x3800, v22
	v_add_co_ci_u32_e32 v25, vcc_lo, 0, v23, vcc_lo
	v_add_co_u32 v26, vcc_lo, 0x4000, v22
	v_add_co_ci_u32_e32 v27, vcc_lo, 0, v23, vcc_lo
	s_waitcnt lgkmcnt(3)
	global_store_dwordx4 v[18:19], v[2:5], off offset:560
	s_waitcnt lgkmcnt(2)
	global_store_dwordx4 v[20:21], v[6:9], off offset:672
	s_waitcnt lgkmcnt(1)
	global_store_dwordx4 v[24:25], v[10:13], off offset:784
	s_waitcnt lgkmcnt(0)
	global_store_dwordx4 v[26:27], v[14:17], off offset:896
	ds_read_b128 v[2:5], v116 offset:19440
	ds_read_b128 v[6:9], v116 offset:21600
	ds_read_b128 v[10:13], v116 offset:23760
	ds_read_b128 v[14:17], v116 offset:25920
	v_add_co_u32 v18, vcc_lo, 0x4800, v22
	v_add_co_ci_u32_e32 v19, vcc_lo, 0, v23, vcc_lo
	v_add_co_u32 v20, vcc_lo, 0x5000, v22
	v_add_co_ci_u32_e32 v21, vcc_lo, 0, v23, vcc_lo
	v_add_co_u32 v24, vcc_lo, 0x5800, v22
	v_add_co_ci_u32_e32 v25, vcc_lo, 0, v23, vcc_lo
	v_add_co_u32 v26, vcc_lo, 0x6000, v22
	v_add_co_ci_u32_e32 v27, vcc_lo, 0, v23, vcc_lo
	s_waitcnt lgkmcnt(3)
	global_store_dwordx4 v[18:19], v[2:5], off offset:1008
	s_waitcnt lgkmcnt(2)
	global_store_dwordx4 v[20:21], v[6:9], off offset:1120
	s_waitcnt lgkmcnt(1)
	global_store_dwordx4 v[24:25], v[10:13], off offset:1232
	s_waitcnt lgkmcnt(0)
	global_store_dwordx4 v[26:27], v[14:17], off offset:1344
	ds_read_b128 v[2:5], v116 offset:28080
	;; [unrolled: 20-line block ×4, first 2 shown]
	ds_read_b128 v[6:9], v116 offset:47520
	ds_read_b128 v[10:13], v116 offset:49680
	;; [unrolled: 1-line block ×4, first 2 shown]
	v_add_co_u32 v24, vcc_lo, 0xb000, v22
	v_add_co_ci_u32_e32 v25, vcc_lo, 0, v23, vcc_lo
	v_add_co_u32 v26, vcc_lo, 0xb800, v22
	v_add_co_ci_u32_e32 v27, vcc_lo, 0, v23, vcc_lo
	;; [unrolled: 2-line block ×5, first 2 shown]
	s_waitcnt lgkmcnt(4)
	global_store_dwordx4 v[24:25], v[2:5], off offset:304
	s_waitcnt lgkmcnt(3)
	global_store_dwordx4 v[26:27], v[6:9], off offset:416
	;; [unrolled: 2-line block ×5, first 2 shown]
	ds_read_b128 v[2:5], v116 offset:56160
	ds_read_b128 v[6:9], v116 offset:58320
	;; [unrolled: 1-line block ×4, first 2 shown]
	v_add_co_u32 v18, vcc_lo, 0xd800, v22
	v_add_co_ci_u32_e32 v19, vcc_lo, 0, v23, vcc_lo
	v_add_co_u32 v20, vcc_lo, 0xe000, v22
	v_add_co_ci_u32_e32 v21, vcc_lo, 0, v23, vcc_lo
	;; [unrolled: 2-line block ×4, first 2 shown]
	v_cmp_eq_u32_e32 vcc_lo, 0x86, v100
	s_waitcnt lgkmcnt(3)
	global_store_dwordx4 v[18:19], v[2:5], off offset:864
	s_waitcnt lgkmcnt(2)
	global_store_dwordx4 v[20:21], v[6:9], off offset:976
	;; [unrolled: 2-line block ×4, first 2 shown]
	s_and_b32 exec_lo, exec_lo, vcc_lo
	s_cbranch_execz .LBB0_20
; %bb.19:
	v_mov_b32_e32 v2, 0
	v_add_co_u32 v0, vcc_lo, 0xf800, v0
	v_add_co_ci_u32_e32 v1, vcc_lo, 0, v1, vcc_lo
	ds_read_b128 v[2:5], v2 offset:64800
	s_waitcnt lgkmcnt(0)
	global_store_dwordx4 v[0:1], v[2:5], off offset:1312
.LBB0_20:
	s_endpgm
	.section	.rodata,"a",@progbits
	.p2align	6, 0x0
	.amdhsa_kernel fft_rtc_back_len4050_factors_10_5_3_3_3_3_wgs_135_tpt_135_halfLds_dp_ip_CI_unitstride_sbrr_R2C_dirReg
		.amdhsa_group_segment_fixed_size 0
		.amdhsa_private_segment_fixed_size 0
		.amdhsa_kernarg_size 88
		.amdhsa_user_sgpr_count 6
		.amdhsa_user_sgpr_private_segment_buffer 1
		.amdhsa_user_sgpr_dispatch_ptr 0
		.amdhsa_user_sgpr_queue_ptr 0
		.amdhsa_user_sgpr_kernarg_segment_ptr 1
		.amdhsa_user_sgpr_dispatch_id 0
		.amdhsa_user_sgpr_flat_scratch_init 0
		.amdhsa_user_sgpr_private_segment_size 0
		.amdhsa_wavefront_size32 1
		.amdhsa_uses_dynamic_stack 0
		.amdhsa_system_sgpr_private_segment_wavefront_offset 0
		.amdhsa_system_sgpr_workgroup_id_x 1
		.amdhsa_system_sgpr_workgroup_id_y 0
		.amdhsa_system_sgpr_workgroup_id_z 0
		.amdhsa_system_sgpr_workgroup_info 0
		.amdhsa_system_vgpr_workitem_id 0
		.amdhsa_next_free_vgpr 201
		.amdhsa_next_free_sgpr 21
		.amdhsa_reserve_vcc 1
		.amdhsa_reserve_flat_scratch 0
		.amdhsa_float_round_mode_32 0
		.amdhsa_float_round_mode_16_64 0
		.amdhsa_float_denorm_mode_32 3
		.amdhsa_float_denorm_mode_16_64 3
		.amdhsa_dx10_clamp 1
		.amdhsa_ieee_mode 1
		.amdhsa_fp16_overflow 0
		.amdhsa_workgroup_processor_mode 1
		.amdhsa_memory_ordered 1
		.amdhsa_forward_progress 0
		.amdhsa_shared_vgpr_count 0
		.amdhsa_exception_fp_ieee_invalid_op 0
		.amdhsa_exception_fp_denorm_src 0
		.amdhsa_exception_fp_ieee_div_zero 0
		.amdhsa_exception_fp_ieee_overflow 0
		.amdhsa_exception_fp_ieee_underflow 0
		.amdhsa_exception_fp_ieee_inexact 0
		.amdhsa_exception_int_div_zero 0
	.end_amdhsa_kernel
	.text
.Lfunc_end0:
	.size	fft_rtc_back_len4050_factors_10_5_3_3_3_3_wgs_135_tpt_135_halfLds_dp_ip_CI_unitstride_sbrr_R2C_dirReg, .Lfunc_end0-fft_rtc_back_len4050_factors_10_5_3_3_3_3_wgs_135_tpt_135_halfLds_dp_ip_CI_unitstride_sbrr_R2C_dirReg
                                        ; -- End function
	.section	.AMDGPU.csdata,"",@progbits
; Kernel info:
; codeLenInByte = 29536
; NumSgprs: 23
; NumVgprs: 201
; ScratchSize: 0
; MemoryBound: 0
; FloatMode: 240
; IeeeMode: 1
; LDSByteSize: 0 bytes/workgroup (compile time only)
; SGPRBlocks: 2
; VGPRBlocks: 25
; NumSGPRsForWavesPerEU: 23
; NumVGPRsForWavesPerEU: 201
; Occupancy: 4
; WaveLimiterHint : 1
; COMPUTE_PGM_RSRC2:SCRATCH_EN: 0
; COMPUTE_PGM_RSRC2:USER_SGPR: 6
; COMPUTE_PGM_RSRC2:TRAP_HANDLER: 0
; COMPUTE_PGM_RSRC2:TGID_X_EN: 1
; COMPUTE_PGM_RSRC2:TGID_Y_EN: 0
; COMPUTE_PGM_RSRC2:TGID_Z_EN: 0
; COMPUTE_PGM_RSRC2:TIDIG_COMP_CNT: 0
	.text
	.p2alignl 6, 3214868480
	.fill 48, 4, 3214868480
	.type	__hip_cuid_d4a523b42da76fdb,@object ; @__hip_cuid_d4a523b42da76fdb
	.section	.bss,"aw",@nobits
	.globl	__hip_cuid_d4a523b42da76fdb
__hip_cuid_d4a523b42da76fdb:
	.byte	0                               ; 0x0
	.size	__hip_cuid_d4a523b42da76fdb, 1

	.ident	"AMD clang version 19.0.0git (https://github.com/RadeonOpenCompute/llvm-project roc-6.4.0 25133 c7fe45cf4b819c5991fe208aaa96edf142730f1d)"
	.section	".note.GNU-stack","",@progbits
	.addrsig
	.addrsig_sym __hip_cuid_d4a523b42da76fdb
	.amdgpu_metadata
---
amdhsa.kernels:
  - .args:
      - .actual_access:  read_only
        .address_space:  global
        .offset:         0
        .size:           8
        .value_kind:     global_buffer
      - .offset:         8
        .size:           8
        .value_kind:     by_value
      - .actual_access:  read_only
        .address_space:  global
        .offset:         16
        .size:           8
        .value_kind:     global_buffer
      - .actual_access:  read_only
        .address_space:  global
        .offset:         24
        .size:           8
        .value_kind:     global_buffer
      - .offset:         32
        .size:           8
        .value_kind:     by_value
      - .actual_access:  read_only
        .address_space:  global
        .offset:         40
        .size:           8
        .value_kind:     global_buffer
      - .actual_access:  read_only
        .address_space:  global
        .offset:         48
        .size:           8
        .value_kind:     global_buffer
      - .offset:         56
        .size:           4
        .value_kind:     by_value
      - .actual_access:  read_only
        .address_space:  global
        .offset:         64
        .size:           8
        .value_kind:     global_buffer
      - .actual_access:  read_only
        .address_space:  global
        .offset:         72
        .size:           8
        .value_kind:     global_buffer
      - .address_space:  global
        .offset:         80
        .size:           8
        .value_kind:     global_buffer
    .group_segment_fixed_size: 0
    .kernarg_segment_align: 8
    .kernarg_segment_size: 88
    .language:       OpenCL C
    .language_version:
      - 2
      - 0
    .max_flat_workgroup_size: 135
    .name:           fft_rtc_back_len4050_factors_10_5_3_3_3_3_wgs_135_tpt_135_halfLds_dp_ip_CI_unitstride_sbrr_R2C_dirReg
    .private_segment_fixed_size: 0
    .sgpr_count:     23
    .sgpr_spill_count: 0
    .symbol:         fft_rtc_back_len4050_factors_10_5_3_3_3_3_wgs_135_tpt_135_halfLds_dp_ip_CI_unitstride_sbrr_R2C_dirReg.kd
    .uniform_work_group_size: 1
    .uses_dynamic_stack: false
    .vgpr_count:     201
    .vgpr_spill_count: 0
    .wavefront_size: 32
    .workgroup_processor_mode: 1
amdhsa.target:   amdgcn-amd-amdhsa--gfx1030
amdhsa.version:
  - 1
  - 2
...

	.end_amdgpu_metadata
